;; amdgpu-corpus repo=ROCm/rocFFT kind=compiled arch=gfx950 opt=O3
	.text
	.amdgcn_target "amdgcn-amd-amdhsa--gfx950"
	.amdhsa_code_object_version 6
	.protected	bluestein_single_fwd_len12288_dim1_half_op_CI_CI ; -- Begin function bluestein_single_fwd_len12288_dim1_half_op_CI_CI
	.globl	bluestein_single_fwd_len12288_dim1_half_op_CI_CI
	.p2align	8
	.type	bluestein_single_fwd_len12288_dim1_half_op_CI_CI,@function
bluestein_single_fwd_len12288_dim1_half_op_CI_CI: ; @bluestein_single_fwd_len12288_dim1_half_op_CI_CI
; %bb.0:
	s_load_dwordx4 s[16:19], s[0:1], 0x28
	s_mov_b32 s3, 0
	s_waitcnt lgkmcnt(0)
	v_mov_b32_e32 v2, s16
	v_mov_b32_e32 v3, s17
	v_cmp_lt_u64_e32 vcc, s[2:3], v[2:3]
	s_and_saveexec_b64 s[4:5], vcc
	s_cbranch_execz .LBB0_2
; %bb.1:
	s_load_dwordx4 s[4:7], s[0:1], 0x18
	s_load_dwordx4 s[8:11], s[0:1], 0x0
	v_mov_b64_e32 v[42:43], s[2:3]
	v_mov_b32_e32 v2, s18
	v_mov_b32_e32 v3, s19
	s_waitcnt lgkmcnt(0)
	s_load_dwordx4 s[12:15], s[4:5], 0x0
	v_lshlrev_b32_e32 v57, 2, v0
	v_mov_b32_e32 v25, 0x1800
	global_load_dword v1, v57, s[8:9]
	v_or_b32_e32 v30, 0x600, v0
	s_waitcnt lgkmcnt(0)
	v_mad_u64_u32 v[4:5], s[2:3], s14, v42, 0
	v_mov_b32_e32 v8, v5
	v_mad_u64_u32 v[6:7], s[2:3], s12, v0, 0
	v_mad_u64_u32 v[8:9], s[2:3], s15, v42, v[8:9]
	v_mov_b32_e32 v5, v8
	v_mov_b32_e32 v8, v7
	v_mad_u64_u32 v[8:9], s[2:3], s13, v0, v[8:9]
	v_mov_b32_e32 v7, v8
	v_lshl_add_u64 v[2:3], v[4:5], 2, v[2:3]
	v_lshl_add_u64 v[2:3], v[6:7], 2, v[2:3]
	global_load_dword v4, v[2:3], off
	v_mad_u64_u32 v[2:3], s[2:3], s12, v25, v[2:3]
	s_mul_i32 s14, s13, 0x1800
	v_add_u32_e32 v3, s14, v3
	v_lshlrev_b32_e32 v53, 2, v30
	global_load_dword v5, v[2:3], off
	global_load_dword v75, v53, s[8:9]
	v_mad_u64_u32 v[2:3], s[2:3], s12, v25, v[2:3]
	v_add_u32_e32 v3, s14, v3
	global_load_dword v6, v[2:3], off
	v_or_b32_e32 v55, 0x3000, v57
	global_load_dword v74, v55, s[8:9]
	v_mad_u64_u32 v[2:3], s[2:3], s12, v25, v[2:3]
	v_add_u32_e32 v3, s14, v3
	global_load_dword v7, v[2:3], off
	v_or_b32_e32 v78, 0x4800, v57
	;; [unrolled: 5-line block ×6, first 2 shown]
	v_mov_b32_e32 v43, 0xffff6000
	s_add_u32 s2, s8, 0xc000
	global_load_dword v69, v52, s[8:9]
	s_mul_i32 s4, s13, 0xffff6000
	s_addc_u32 s3, s9, 0
	s_sub_i32 s13, s4, s12
	v_mad_u64_u32 v[2:3], s[4:5], s12, v43, v[2:3]
	v_add_u32_e32 v3, s13, v3
	global_load_dword v12, v[2:3], off
	global_load_dword v68, v57, s[8:9] offset:2048
	v_mad_u64_u32 v[2:3], s[4:5], s12, v25, v[2:3]
	v_add_u32_e32 v3, s14, v3
	global_load_dword v13, v[2:3], off
	v_or_b32_e32 v54, 0x2000, v57
	global_load_dword v67, v54, s[8:9]
	v_mad_u64_u32 v[2:3], s[16:17], s12, v25, v[2:3]
	v_add_u32_e32 v3, s14, v3
	v_or_b32_e32 v87, 0x3800, v57
	global_load_dword v65, v87, s[8:9]
	global_load_dword v14, v[2:3], off
	v_mad_u64_u32 v[2:3], s[16:17], s12, v25, v[2:3]
	v_add_u32_e32 v3, s14, v3
	v_or_b32_e32 v83, 0x5000, v57
	s_load_dwordx4 s[4:7], s[6:7], 0x0
	v_or_b32_e32 v98, 0x6800, v57
	v_or_b32_e32 v88, 0x8000, v57
	;; [unrolled: 1-line block ×5, first 2 shown]
	v_lshlrev_b32_e32 v110, 2, v31
	v_or_b32_e32 v99, 0x2800, v57
	v_or_b32_e32 v100, 0x4000, v57
	;; [unrolled: 1-line block ×5, first 2 shown]
	s_waitcnt vmcnt(20)
	v_lshrrev_b32_e32 v15, 16, v4
	v_mul_f16_sdwa v16, v1, v4 dst_sel:DWORD dst_unused:UNUSED_PAD src0_sel:WORD_1 src1_sel:DWORD
	v_mul_f16_sdwa v17, v1, v15 dst_sel:DWORD dst_unused:UNUSED_PAD src0_sel:WORD_1 src1_sel:DWORD
	v_fma_f16 v15, v1, v15, -v16
	v_fma_f16 v4, v1, v4, v17
	s_waitcnt vmcnt(19)
	v_lshrrev_b32_e32 v16, 16, v5
	s_waitcnt vmcnt(18)
	v_mul_f16_sdwa v17, v75, v5 dst_sel:DWORD dst_unused:UNUSED_PAD src0_sel:WORD_1 src1_sel:DWORD
	v_pack_b32_f16 v4, v4, v15
	v_mul_f16_sdwa v15, v75, v16 dst_sel:DWORD dst_unused:UNUSED_PAD src0_sel:WORD_1 src1_sel:DWORD
	v_fma_f16 v5, v75, v5, v15
	v_fma_f16 v15, v75, v16, -v17
	v_pack_b32_f16 v5, v5, v15
	s_waitcnt vmcnt(17)
	v_lshrrev_b32_e32 v15, 16, v6
	s_waitcnt vmcnt(16)
	v_mul_f16_sdwa v16, v74, v15 dst_sel:DWORD dst_unused:UNUSED_PAD src0_sel:WORD_1 src1_sel:DWORD
	v_fma_f16 v16, v74, v6, v16
	v_mul_f16_sdwa v6, v74, v6 dst_sel:DWORD dst_unused:UNUSED_PAD src0_sel:WORD_1 src1_sel:DWORD
	v_fma_f16 v6, v74, v15, -v6
	s_waitcnt vmcnt(15)
	v_lshrrev_b32_e32 v15, 16, v7
	v_pack_b32_f16 v6, v16, v6
	s_waitcnt vmcnt(14)
	v_mul_f16_sdwa v16, v73, v15 dst_sel:DWORD dst_unused:UNUSED_PAD src0_sel:WORD_1 src1_sel:DWORD
	v_fma_f16 v16, v73, v7, v16
	v_mul_f16_sdwa v7, v73, v7 dst_sel:DWORD dst_unused:UNUSED_PAD src0_sel:WORD_1 src1_sel:DWORD
	v_fma_f16 v7, v73, v15, -v7
	s_waitcnt vmcnt(13)
	v_lshrrev_b32_e32 v15, 16, v8
	v_pack_b32_f16 v7, v16, v7
	;; [unrolled: 8-line block ×5, first 2 shown]
	global_load_dword v16, v[2:3], off
	s_waitcnt vmcnt(7)
	v_mul_f16_sdwa v17, v69, v15 dst_sel:DWORD dst_unused:UNUSED_PAD src0_sel:WORD_1 src1_sel:DWORD
	v_fma_f16 v17, v69, v11, v17
	v_mul_f16_sdwa v11, v69, v11 dst_sel:DWORD dst_unused:UNUSED_PAD src0_sel:WORD_1 src1_sel:DWORD
	v_fma_f16 v11, v69, v15, -v11
	v_pack_b32_f16 v11, v17, v11
	v_mad_u64_u32 v[2:3], s[16:17], s12, v25, v[2:3]
	s_waitcnt vmcnt(6)
	v_lshrrev_b32_e32 v15, 16, v12
	s_waitcnt vmcnt(5)
	v_mul_f16_sdwa v17, v68, v15 dst_sel:DWORD dst_unused:UNUSED_PAD src0_sel:WORD_1 src1_sel:DWORD
	v_fma_f16 v17, v68, v12, v17
	v_mul_f16_sdwa v12, v68, v12 dst_sel:DWORD dst_unused:UNUSED_PAD src0_sel:WORD_1 src1_sel:DWORD
	v_fma_f16 v12, v68, v15, -v12
	v_pack_b32_f16 v12, v17, v12
	v_add_u32_e32 v3, s14, v3
	global_load_dword v66, v83, s[8:9]
	global_load_dword v64, v98, s[8:9]
	;; [unrolled: 1-line block ×5, first 2 shown]
	ds_write2st64_b32 v57, v4, v12 offset1:8
	global_load_dword v12, v[2:3], off
	v_mad_u64_u32 v[2:3], s[16:17], s12, v25, v[2:3]
	v_add_u32_e32 v3, s14, v3
	s_waitcnt vmcnt(10)
	v_lshrrev_b32_e32 v4, 16, v13
	global_load_dword v17, v[2:3], off
	s_waitcnt vmcnt(10)
	v_mul_f16_sdwa v15, v67, v4 dst_sel:DWORD dst_unused:UNUSED_PAD src0_sel:WORD_1 src1_sel:DWORD
	v_mad_u64_u32 v[2:3], s[16:17], s12, v25, v[2:3]
	v_fma_f16 v15, v67, v13, v15
	v_mul_f16_sdwa v13, v67, v13 dst_sel:DWORD dst_unused:UNUSED_PAD src0_sel:WORD_1 src1_sel:DWORD
	v_add_u32_e32 v3, s14, v3
	v_fma_f16 v4, v67, v4, -v13
	global_load_dword v13, v[2:3], off
	v_mad_u64_u32 v[2:3], s[16:17], s12, v25, v[2:3]
	v_add_u32_e32 v3, s14, v3
	global_load_dword v19, v[2:3], off
	v_mad_u64_u32 v[2:3], s[16:17], s12, v43, v[2:3]
	v_add_u32_e32 v3, s13, v3
	global_load_dword v20, v[2:3], off
	global_load_dword v60, v110, s[8:9]
	v_mad_u64_u32 v[2:3], s[16:17], s12, v25, v[2:3]
	v_add_u32_e32 v3, s14, v3
	global_load_dword v21, v[2:3], off
	v_pack_b32_f16 v4, v15, v4
	s_waitcnt vmcnt(13)
	v_lshrrev_b32_e32 v15, 16, v14
	global_load_dword v59, v99, s[8:9]
	global_load_dword v58, v100, s[8:9]
	;; [unrolled: 1-line block ×5, first 2 shown]
	v_mul_f16_sdwa v18, v65, v15 dst_sel:DWORD dst_unused:UNUSED_PAD src0_sel:WORD_1 src1_sel:DWORD
	v_mad_u64_u32 v[2:3], s[16:17], s12, v25, v[2:3]
	v_fma_f16 v18, v65, v14, v18
	v_mul_f16_sdwa v14, v65, v14 dst_sel:DWORD dst_unused:UNUSED_PAD src0_sel:WORD_1 src1_sel:DWORD
	v_add_u32_e32 v3, s14, v3
	v_fma_f16 v14, v65, v15, -v14
	global_load_dword v15, v[2:3], off
	v_mad_u64_u32 v[2:3], s[16:17], s12, v25, v[2:3]
	v_add_u32_e32 v3, s14, v3
	v_pack_b32_f16 v14, v18, v14
	global_load_dword v18, v[2:3], off
	v_mad_u64_u32 v[2:3], s[16:17], s12, v25, v[2:3]
	v_add_u32_e32 v3, s14, v3
	ds_write2st64_b32 v57, v6, v14 offset0:48 offset1:56
	global_load_dword v6, v[2:3], off
	v_mad_u64_u32 v[2:3], s[16:17], s12, v25, v[2:3]
	v_add_u32_e32 v3, s14, v3
	global_load_dword v22, v[2:3], off
	v_mad_u64_u32 v[2:3], s[16:17], s12, v25, v[2:3]
	v_add_u32_e32 v3, s14, v3
	global_load_dword v24, v[2:3], off
	v_or_b32_e32 v106, 0xa000, v57
	global_load_dword v33, v106, s[8:9]
	v_mad_u64_u32 v[2:3], s[12:13], s12, v25, v[2:3]
	v_add_u32_e32 v3, s14, v3
	global_load_dword v2, v[2:3], off
	v_or_b32_e32 v108, 0xb800, v57
	global_load_dword v29, v108, s[8:9]
	s_waitcnt vmcnt(25)
	v_lshrrev_b32_e32 v14, 16, v16
	s_movk_i32 s12, 0x39a8
	s_mov_b32 s9, 0xb9a8
	v_lshlrev_b32_e32 v77, 5, v0
	v_lshlrev_b32_e32 v86, 5, v31
	s_movk_i32 s8, 0xfc0
	s_waitcnt vmcnt(24)
	v_mul_f16_sdwa v3, v66, v16 dst_sel:DWORD dst_unused:UNUSED_PAD src0_sel:WORD_1 src1_sel:DWORD
	v_mul_f16_sdwa v23, v66, v14 dst_sel:DWORD dst_unused:UNUSED_PAD src0_sel:WORD_1 src1_sel:DWORD
	v_fma_f16 v3, v66, v14, -v3
	v_fma_f16 v23, v66, v16, v23
	v_pack_b32_f16 v3, v23, v3
	v_lshlrev_b32_e32 v50, 3, v0
	s_waitcnt vmcnt(19)
	v_lshrrev_b32_e32 v14, 16, v12
	v_mul_f16_sdwa v16, v64, v14 dst_sel:DWORD dst_unused:UNUSED_PAD src0_sel:WORD_1 src1_sel:DWORD
	v_fma_f16 v16, v64, v12, v16
	v_mul_f16_sdwa v12, v64, v12 dst_sel:DWORD dst_unused:UNUSED_PAD src0_sel:WORD_1 src1_sel:DWORD
	v_fma_f16 v12, v64, v14, -v12
	v_pack_b32_f16 v12, v16, v12
	ds_write2st64_b32 v57, v8, v12 offset0:96 offset1:104
	s_waitcnt vmcnt(18)
	v_lshrrev_b32_e32 v8, 16, v17
	v_mul_f16_sdwa v12, v63, v8 dst_sel:DWORD dst_unused:UNUSED_PAD src0_sel:WORD_1 src1_sel:DWORD
	v_mul_f16_sdwa v14, v63, v17 dst_sel:DWORD dst_unused:UNUSED_PAD src0_sel:WORD_1 src1_sel:DWORD
	v_fma_f16 v12, v63, v17, v12
	v_fma_f16 v8, v63, v8, -v14
	v_pack_b32_f16 v8, v12, v8
	s_waitcnt vmcnt(17)
	v_lshrrev_b32_e32 v12, 16, v13
	v_mul_f16_sdwa v14, v62, v12 dst_sel:DWORD dst_unused:UNUSED_PAD src0_sel:WORD_1 src1_sel:DWORD
	v_fma_f16 v14, v62, v13, v14
	v_mul_f16_sdwa v13, v62, v13 dst_sel:DWORD dst_unused:UNUSED_PAD src0_sel:WORD_1 src1_sel:DWORD
	v_fma_f16 v12, v62, v12, -v13
	v_pack_b32_f16 v12, v14, v12
	ds_write2st64_b32 v57, v10, v12 offset0:144 offset1:152
	s_waitcnt vmcnt(16)
	v_lshrrev_b32_e32 v10, 16, v19
	v_mul_f16_sdwa v12, v61, v10 dst_sel:DWORD dst_unused:UNUSED_PAD src0_sel:WORD_1 src1_sel:DWORD
	v_mul_f16_sdwa v13, v61, v19 dst_sel:DWORD dst_unused:UNUSED_PAD src0_sel:WORD_1 src1_sel:DWORD
	v_fma_f16 v12, v61, v19, v12
	v_fma_f16 v10, v61, v10, -v13
	v_pack_b32_f16 v10, v12, v10
	s_waitcnt vmcnt(15)
	v_lshrrev_b32_e32 v12, 16, v20
	s_waitcnt vmcnt(14)
	v_mul_f16_sdwa v13, v60, v12 dst_sel:DWORD dst_unused:UNUSED_PAD src0_sel:WORD_1 src1_sel:DWORD
	v_mul_f16_sdwa v14, v60, v20 dst_sel:DWORD dst_unused:UNUSED_PAD src0_sel:WORD_1 src1_sel:DWORD
	v_fma_f16 v13, v60, v20, v13
	v_fma_f16 v12, v60, v12, -v14
	v_pack_b32_f16 v12, v13, v12
	ds_write2st64_b32 v57, v12, v5 offset0:16 offset1:24
	s_waitcnt vmcnt(13)
	v_lshrrev_b32_e32 v5, 16, v21
	s_waitcnt vmcnt(12)
	v_mul_f16_sdwa v12, v59, v5 dst_sel:DWORD dst_unused:UNUSED_PAD src0_sel:WORD_1 src1_sel:DWORD
	v_mul_f16_sdwa v13, v59, v21 dst_sel:DWORD dst_unused:UNUSED_PAD src0_sel:WORD_1 src1_sel:DWORD
	v_fma_f16 v12, v59, v21, v12
	v_fma_f16 v5, v59, v5, -v13
	v_pack_b32_f16 v5, v12, v5
	ds_write2st64_b32 v57, v4, v5 offset0:32 offset1:40
	s_movk_i32 s13, 0x3aee
	s_waitcnt vmcnt(7)
	v_lshrrev_b32_e32 v4, 16, v15
	v_mul_f16_sdwa v5, v58, v4 dst_sel:DWORD dst_unused:UNUSED_PAD src0_sel:WORD_1 src1_sel:DWORD
	v_mul_f16_sdwa v12, v58, v15 dst_sel:DWORD dst_unused:UNUSED_PAD src0_sel:WORD_1 src1_sel:DWORD
	v_fma_f16 v5, v58, v15, v5
	v_fma_f16 v4, v58, v4, -v12
	v_pack_b32_f16 v4, v5, v4
	ds_write2st64_b32 v57, v4, v7 offset0:64 offset1:72
	s_waitcnt vmcnt(6)
	v_lshrrev_b32_e32 v4, 16, v18
	v_mul_f16_sdwa v5, v56, v4 dst_sel:DWORD dst_unused:UNUSED_PAD src0_sel:WORD_1 src1_sel:DWORD
	v_mul_f16_sdwa v7, v56, v18 dst_sel:DWORD dst_unused:UNUSED_PAD src0_sel:WORD_1 src1_sel:DWORD
	v_fma_f16 v5, v56, v18, v5
	v_fma_f16 v4, v56, v4, -v7
	v_pack_b32_f16 v4, v5, v4
	ds_write2st64_b32 v57, v3, v4 offset0:80 offset1:88
	s_waitcnt vmcnt(5)
	v_lshrrev_b32_e32 v3, 16, v6
	v_mul_f16_sdwa v4, v41, v3 dst_sel:DWORD dst_unused:UNUSED_PAD src0_sel:WORD_1 src1_sel:DWORD
	v_mul_f16_sdwa v5, v41, v6 dst_sel:DWORD dst_unused:UNUSED_PAD src0_sel:WORD_1 src1_sel:DWORD
	v_fma_f16 v4, v41, v6, v4
	v_fma_f16 v3, v41, v3, -v5
	v_pack_b32_f16 v3, v4, v3
	ds_write2st64_b32 v57, v3, v9 offset0:112 offset1:120
	s_waitcnt vmcnt(4)
	v_lshrrev_b32_e32 v3, 16, v22
	v_mul_f16_sdwa v4, v37, v3 dst_sel:DWORD dst_unused:UNUSED_PAD src0_sel:WORD_1 src1_sel:DWORD
	v_mul_f16_sdwa v5, v37, v22 dst_sel:DWORD dst_unused:UNUSED_PAD src0_sel:WORD_1 src1_sel:DWORD
	v_fma_f16 v4, v37, v22, v4
	v_fma_f16 v3, v37, v3, -v5
	v_pack_b32_f16 v3, v4, v3
	ds_write2st64_b32 v57, v8, v3 offset0:128 offset1:136
	s_waitcnt vmcnt(3)
	v_lshrrev_b32_e32 v3, 16, v24
	s_waitcnt vmcnt(2)
	v_mul_f16_sdwa v4, v33, v3 dst_sel:DWORD dst_unused:UNUSED_PAD src0_sel:WORD_1 src1_sel:DWORD
	v_mul_f16_sdwa v5, v33, v24 dst_sel:DWORD dst_unused:UNUSED_PAD src0_sel:WORD_1 src1_sel:DWORD
	v_fma_f16 v4, v33, v24, v4
	v_fma_f16 v3, v33, v3, -v5
	v_pack_b32_f16 v3, v4, v3
	ds_write2st64_b32 v57, v3, v11 offset0:160 offset1:168
	s_waitcnt vmcnt(1)
	v_lshrrev_b32_e32 v3, 16, v2
	s_waitcnt vmcnt(0)
	v_mul_f16_sdwa v4, v29, v3 dst_sel:DWORD dst_unused:UNUSED_PAD src0_sel:WORD_1 src1_sel:DWORD
	v_fma_f16 v4, v29, v2, v4
	v_mul_f16_sdwa v2, v29, v2 dst_sel:DWORD dst_unused:UNUSED_PAD src0_sel:WORD_1 src1_sel:DWORD
	v_fma_f16 v2, v29, v3, -v2
	v_pack_b32_f16 v2, v4, v2
	ds_write2st64_b32 v57, v10, v2 offset0:176 offset1:184
	s_waitcnt lgkmcnt(0)
	s_barrier
	ds_read2st64_b32 v[10:11], v57 offset1:8
	ds_read2st64_b32 v[2:3], v57 offset0:16 offset1:24
	ds_read2st64_b32 v[12:13], v57 offset0:48 offset1:56
	ds_read2st64_b32 v[18:19], v57 offset0:96 offset1:104
	ds_read2st64_b32 v[4:5], v57 offset0:64 offset1:72
	ds_read2st64_b32 v[20:21], v57 offset0:144 offset1:152
	ds_read2st64_b32 v[8:9], v57 offset0:112 offset1:120
	ds_read2st64_b32 v[6:7], v57 offset0:160 offset1:168
	v_lshrrev_b32_e32 v95, 8, v0
	s_waitcnt lgkmcnt(7)
	v_lshrrev_b32_e32 v14, 16, v10
	s_waitcnt lgkmcnt(6)
	;; [unrolled: 2-line block ×3, first 2 shown]
	v_sub_f16_sdwa v23, v15, v9 dst_sel:DWORD dst_unused:UNUSED_PAD src0_sel:DWORD src1_sel:WORD_1
	v_fma_f16 v24, v15, 2.0, -v23
	v_lshrrev_b32_e32 v15, 16, v5
	v_lshrrev_b32_e32 v16, 16, v12
	s_waitcnt lgkmcnt(0)
	v_sub_f16_sdwa v26, v15, v7 dst_sel:DWORD dst_unused:UNUSED_PAD src0_sel:DWORD src1_sel:WORD_1
	v_sub_f16_sdwa v22, v14, v18 dst_sel:DWORD dst_unused:UNUSED_PAD src0_sel:DWORD src1_sel:WORD_1
	;; [unrolled: 1-line block ×3, first 2 shown]
	v_fma_f16 v15, v15, 2.0, -v26
	v_sub_f16_e32 v18, v10, v18
	v_sub_f16_e32 v9, v3, v9
	v_fma_f16 v14, v14, 2.0, -v22
	v_fma_f16 v16, v16, 2.0, -v17
	v_sub_f16_e32 v20, v12, v20
	v_sub_f16_e32 v28, v18, v17
	;; [unrolled: 1-line block ×5, first 2 shown]
	v_fma_f16 v12, v12, 2.0, -v20
	v_sub_f16_e32 v27, v14, v16
	v_add_f16_e32 v20, v22, v20
	v_fma_f16 v5, v5, 2.0, -v7
	v_add_f16_e32 v7, v23, v7
	v_fma_f16 v16, v15, s12, v28
	v_fma_f16 v36, v7, s9, v16
	;; [unrolled: 1-line block ×3, first 2 shown]
	v_fma_f16 v10, v10, 2.0, -v18
	v_fma_f16 v3, v3, 2.0, -v9
	v_fma_f16 v40, v15, s12, v16
	v_fma_f16 v18, v18, 2.0, -v28
	v_fma_f16 v9, v9, 2.0, -v15
	v_fma_f16 v34, v20, 2.0, -v40
	v_fma_f16 v20, v22, 2.0, -v20
	v_fma_f16 v7, v23, 2.0, -v7
	v_fma_f16 v15, v9, s9, v18
	v_fma_f16 v17, v28, 2.0, -v36
	v_fma_f16 v28, v7, s9, v15
	v_fma_f16 v7, v7, s9, v20
	v_sub_f16_e32 v12, v10, v12
	v_sub_f16_e32 v5, v3, v5
	v_fma_f16 v7, v9, s12, v7
	v_sub_f16_e32 v44, v12, v32
	v_add_f16_e32 v45, v27, v5
	v_fma_f16 v9, v18, 2.0, -v28
	v_fma_f16 v15, v20, 2.0, -v7
	;; [unrolled: 1-line block ×4, first 2 shown]
	v_pack_b32_f16 v15, v9, v15
	v_fma_f16 v9, v10, 2.0, -v12
	v_fma_f16 v10, v14, 2.0, -v27
	;; [unrolled: 1-line block ×4, first 2 shown]
	v_pack_b32_f16 v17, v17, v34
	v_pack_b32_f16 v16, v16, v26
	v_sub_f16_e32 v3, v9, v3
	v_sub_f16_e32 v5, v10, v5
	ds_read2st64_b32 v[22:23], v57 offset0:32 offset1:40
	ds_read2st64_b32 v[26:27], v57 offset0:80 offset1:88
	;; [unrolled: 1-line block ×4, first 2 shown]
	v_fma_f16 v9, v9, 2.0, -v3
	v_fma_f16 v10, v10, 2.0, -v5
	v_pack_b32_f16 v14, v9, v10
	s_waitcnt lgkmcnt(0)
	s_barrier
	ds_write_b128 v77, v[14:17]
	v_pack_b32_f16 v17, v36, v40
	v_pack_b32_f16 v16, v44, v45
	;; [unrolled: 1-line block ×4, first 2 shown]
	ds_write_b128 v77, v[14:17] offset:16
	v_sub_f16_e32 v5, v11, v19
	v_lshrrev_b32_e32 v10, 16, v13
	v_lshrrev_b32_e32 v16, 16, v26
	;; [unrolled: 1-line block ×3, first 2 shown]
	v_fma_f16 v9, v11, 2.0, -v5
	v_sub_f16_e32 v11, v13, v21
	v_sub_f16_sdwa v12, v10, v21 dst_sel:DWORD dst_unused:UNUSED_PAD src0_sel:DWORD src1_sel:WORD_1
	v_lshrrev_b32_e32 v14, 16, v22
	v_sub_f16_sdwa v17, v16, v38 dst_sel:DWORD dst_unused:UNUSED_PAD src0_sel:DWORD src1_sel:WORD_1
	v_sub_f16_e32 v20, v22, v34
	v_sub_f16_sdwa v7, v3, v19 dst_sel:DWORD dst_unused:UNUSED_PAD src0_sel:DWORD src1_sel:WORD_1
	v_fma_f16 v13, v13, 2.0, -v11
	v_fma_f16 v10, v10, 2.0, -v12
	v_sub_f16_sdwa v15, v14, v34 dst_sel:DWORD dst_unused:UNUSED_PAD src0_sel:DWORD src1_sel:WORD_1
	v_fma_f16 v16, v16, 2.0, -v17
	v_sub_f16_e32 v19, v5, v12
	v_sub_f16_e32 v12, v26, v38
	;; [unrolled: 1-line block ×4, first 2 shown]
	v_add_f16_e32 v11, v7, v11
	v_fma_f16 v13, v26, 2.0, -v12
	v_add_f16_e32 v24, v15, v12
	v_fma_f16 v12, v17, s12, v19
	v_fma_f16 v26, v24, s9, v12
	v_fma_f16 v12, v24, s12, v11
	v_fma_f16 v28, v17, s12, v12
	v_fma_f16 v3, v3, 2.0, -v7
	v_fma_f16 v38, v11, 2.0, -v28
	;; [unrolled: 1-line block ×7, first 2 shown]
	v_fma_f16 v17, v11, s9, v5
	v_fma_f16 v17, v15, s9, v17
	;; [unrolled: 1-line block ×3, first 2 shown]
	v_fma_f16 v21, v22, 2.0, -v20
	v_fma_f16 v15, v11, s12, v15
	v_sub_f16_e32 v10, v3, v10
	v_sub_f16_e32 v22, v21, v13
	;; [unrolled: 1-line block ×3, first 2 shown]
	v_fma_f16 v5, v5, 2.0, -v17
	v_fma_f16 v7, v7, 2.0, -v15
	v_pack_b32_f16 v11, v5, v7
	v_fma_f16 v5, v9, 2.0, -v18
	v_fma_f16 v3, v3, 2.0, -v10
	;; [unrolled: 1-line block ×4, first 2 shown]
	v_sub_f16_e32 v32, v18, v16
	v_add_f16_e32 v34, v10, v22
	v_sub_f16_e32 v7, v5, v7
	v_sub_f16_e32 v9, v3, v9
	v_fma_f16 v12, v18, 2.0, -v32
	v_fma_f16 v36, v10, 2.0, -v34
	;; [unrolled: 1-line block ×5, first 2 shown]
	v_pack_b32_f16 v13, v13, v38
	v_pack_b32_f16 v12, v12, v36
	;; [unrolled: 1-line block ×3, first 2 shown]
	ds_write_b128 v77, v[10:13] offset:16384
	v_pack_b32_f16 v12, v32, v34
	v_or_b32_e32 v32, 0x200, v0
	v_pack_b32_f16 v13, v26, v28
	v_pack_b32_f16 v11, v17, v15
	;; [unrolled: 1-line block ×3, first 2 shown]
	v_lshlrev_b32_e32 v97, 5, v32
	ds_write_b128 v97, v[10:13] offset:16
	v_lshrrev_b32_e32 v3, 16, v2
	v_lshrrev_b32_e32 v5, 16, v23
	;; [unrolled: 1-line block ×4, first 2 shown]
	v_sub_f16_e32 v7, v2, v8
	v_sub_f16_sdwa v8, v3, v8 dst_sel:DWORD dst_unused:UNUSED_PAD src0_sel:DWORD src1_sel:WORD_1
	v_sub_f16_e32 v10, v4, v6
	v_sub_f16_sdwa v6, v9, v6 dst_sel:DWORD dst_unused:UNUSED_PAD src0_sel:DWORD src1_sel:WORD_1
	v_sub_f16_sdwa v13, v5, v35 dst_sel:DWORD dst_unused:UNUSED_PAD src0_sel:DWORD src1_sel:WORD_1
	v_sub_f16_sdwa v16, v11, v39 dst_sel:DWORD dst_unused:UNUSED_PAD src0_sel:DWORD src1_sel:WORD_1
	v_fma_f16 v3, v3, 2.0, -v8
	v_fma_f16 v9, v9, 2.0, -v6
	;; [unrolled: 1-line block ×4, first 2 shown]
	v_sub_f16_e32 v12, v23, v35
	v_sub_f16_e32 v15, v27, v39
	;; [unrolled: 1-line block ×4, first 2 shown]
	v_fma_f16 v4, v4, 2.0, -v10
	v_fma_f16 v17, v27, 2.0, -v15
	;; [unrolled: 1-line block ×3, first 2 shown]
	v_sub_f16_e32 v6, v7, v6
	v_add_f16_e32 v10, v8, v10
	v_fma_f16 v5, v5, 2.0, -v11
	v_sub_f16_e32 v16, v12, v16
	v_add_f16_e32 v15, v13, v15
	v_fma_f16 v2, v2, 2.0, -v7
	v_fma_f16 v14, v23, 2.0, -v12
	;; [unrolled: 1-line block ×6, first 2 shown]
	v_sub_f16_e32 v18, v3, v5
	v_fma_f16 v19, v3, 2.0, -v18
	v_fma_f16 v3, v12, s9, v7
	v_fma_f16 v5, v13, s9, v8
	v_sub_f16_e32 v4, v2, v4
	v_sub_f16_e32 v17, v14, v17
	v_fma_f16 v13, v13, s9, v3
	v_fma_f16 v12, v12, s12, v5
	v_fma_f16 v2, v2, 2.0, -v4
	v_fma_f16 v14, v14, 2.0, -v17
	;; [unrolled: 1-line block ×4, first 2 shown]
	v_sub_f16_e32 v8, v4, v11
	v_add_f16_e32 v11, v9, v17
	v_fma_f16 v5, v16, s12, v6
	v_fma_f16 v17, v15, s12, v10
	v_sub_f16_e32 v14, v2, v14
	v_fma_f16 v15, v15, s9, v5
	v_fma_f16 v16, v16, s12, v17
	v_fma_f16 v2, v2, 2.0, -v14
	v_fma_f16 v4, v4, 2.0, -v8
	;; [unrolled: 1-line block ×5, first 2 shown]
	v_pack_b32_f16 v5, v5, v6
	v_pack_b32_f16 v4, v4, v9
	;; [unrolled: 1-line block ×4, first 2 shown]
	v_and_b32_e32 v26, 7, v0
	ds_write_b128 v77, v[2:5] offset:32768
	v_pack_b32_f16 v5, v15, v16
	v_pack_b32_f16 v4, v8, v11
	;; [unrolled: 1-line block ×4, first 2 shown]
	v_mad_u64_u32 v[6:7], s[14:15], v26, 28, s[10:11]
	ds_write_b128 v86, v[2:5] offset:16
	s_waitcnt lgkmcnt(0)
	s_barrier
	global_load_dwordx4 v[2:5], v[6:7], off
	global_load_dwordx3 v[22:24], v[6:7], off offset:16
	ds_read2st64_b32 v[6:7], v57 offset0:16 offset1:24
	ds_read2st64_b32 v[14:15], v57 offset0:48 offset1:56
	ds_read2st64_b32 v[8:9], v57 offset0:64 offset1:72
	ds_read2st64_b32 v[16:17], v57 offset0:96 offset1:104
	ds_read2st64_b32 v[18:19], v57 offset0:144 offset1:152
	s_waitcnt lgkmcnt(4)
	v_lshrrev_b32_e32 v10, 16, v7
	s_waitcnt lgkmcnt(3)
	v_lshrrev_b32_e32 v11, 16, v14
	v_and_or_b32 v50, v50, s8, v26
	v_lshlrev_b32_e32 v81, 2, v50
	s_waitcnt lgkmcnt(0)
	v_lshrrev_b32_e32 v20, 16, v18
	s_movk_i32 s8, 0x1fc0
	v_mul_u32_u24_e32 v95, 0x600, v95
	s_load_dwordx2 s[0:1], s[0:1], 0x38
	s_waitcnt vmcnt(1)
	v_mul_f16_sdwa v12, v10, v2 dst_sel:DWORD dst_unused:UNUSED_PAD src0_sel:DWORD src1_sel:WORD_1
	v_fma_f16 v27, v7, v2, -v12
	v_mul_f16_sdwa v7, v7, v2 dst_sel:DWORD dst_unused:UNUSED_PAD src0_sel:DWORD src1_sel:WORD_1
	v_fma_f16 v7, v10, v2, v7
	v_mul_f16_sdwa v10, v14, v3 dst_sel:DWORD dst_unused:UNUSED_PAD src0_sel:DWORD src1_sel:WORD_1
	v_fma_f16 v28, v11, v3, v10
	v_mul_f16_sdwa v10, v11, v3 dst_sel:DWORD dst_unused:UNUSED_PAD src0_sel:DWORD src1_sel:WORD_1
	v_fma_f16 v14, v14, v3, -v10
	v_lshrrev_b32_e32 v10, 16, v9
	v_mul_f16_sdwa v11, v9, v4 dst_sel:DWORD dst_unused:UNUSED_PAD src0_sel:DWORD src1_sel:WORD_1
	v_fma_f16 v34, v10, v4, v11
	v_mul_f16_sdwa v10, v10, v4 dst_sel:DWORD dst_unused:UNUSED_PAD src0_sel:DWORD src1_sel:WORD_1
	v_fma_f16 v9, v9, v4, -v10
	ds_read2st64_b32 v[10:11], v57 offset0:112 offset1:120
	v_lshrrev_b32_e32 v12, 16, v16
	v_mul_f16_sdwa v13, v16, v5 dst_sel:DWORD dst_unused:UNUSED_PAD src0_sel:DWORD src1_sel:WORD_1
	v_fma_f16 v35, v12, v5, v13
	v_mul_f16_sdwa v12, v12, v5 dst_sel:DWORD dst_unused:UNUSED_PAD src0_sel:DWORD src1_sel:WORD_1
	v_fma_f16 v16, v16, v5, -v12
	s_waitcnt lgkmcnt(0)
	v_lshrrev_b32_e32 v12, 16, v11
	s_waitcnt vmcnt(0)
	v_mul_f16_sdwa v13, v11, v22 dst_sel:DWORD dst_unused:UNUSED_PAD src0_sel:DWORD src1_sel:WORD_1
	v_fma_f16 v36, v12, v22, v13
	v_mul_f16_sdwa v12, v12, v22 dst_sel:DWORD dst_unused:UNUSED_PAD src0_sel:DWORD src1_sel:WORD_1
	v_fma_f16 v11, v11, v22, -v12
	ds_read2st64_b32 v[12:13], v57 offset0:160 offset1:168
	v_mul_f16_sdwa v21, v18, v23 dst_sel:DWORD dst_unused:UNUSED_PAD src0_sel:DWORD src1_sel:WORD_1
	v_fma_f16 v38, v20, v23, v21
	v_mul_f16_sdwa v20, v20, v23 dst_sel:DWORD dst_unused:UNUSED_PAD src0_sel:DWORD src1_sel:WORD_1
	v_fma_f16 v18, v18, v23, -v20
	ds_read2st64_b32 v[20:21], v57 offset1:8
	s_waitcnt lgkmcnt(1)
	v_lshrrev_b32_e32 v39, 16, v13
	v_mul_f16_sdwa v40, v13, v24 dst_sel:DWORD dst_unused:UNUSED_PAD src0_sel:DWORD src1_sel:WORD_1
	v_fma_f16 v40, v39, v24, v40
	v_mul_f16_sdwa v39, v39, v24 dst_sel:DWORD dst_unused:UNUSED_PAD src0_sel:DWORD src1_sel:WORD_1
	v_fma_f16 v13, v13, v24, -v39
	s_waitcnt lgkmcnt(0)
	v_sub_f16_e32 v16, v20, v16
	v_lshrrev_b32_e32 v39, 16, v20
	v_sub_f16_e32 v38, v28, v38
	v_sub_f16_e32 v11, v27, v11
	;; [unrolled: 1-line block ×7, first 2 shown]
	v_fma_f16 v34, v34, 2.0, -v40
	v_sub_f16_e32 v48, v16, v38
	v_sub_f16_e32 v40, v11, v40
	v_fma_f16 v14, v14, 2.0, -v18
	v_fma_f16 v28, v28, 2.0, -v38
	;; [unrolled: 1-line block ×4, first 2 shown]
	v_add_f16_e32 v18, v35, v18
	v_add_f16_e32 v13, v36, v13
	v_fma_f16 v11, v11, 2.0, -v40
	v_fma_f16 v38, v16, 2.0, -v48
	;; [unrolled: 1-line block ×6, first 2 shown]
	v_fma_f16 v44, v11, s9, v38
	v_fma_f16 v49, v36, s9, v44
	;; [unrolled: 1-line block ×3, first 2 shown]
	v_fma_f16 v16, v20, 2.0, -v16
	v_fma_f16 v11, v11, s12, v36
	v_sub_f16_e32 v14, v16, v14
	v_sub_f16_e32 v20, v39, v28
	;; [unrolled: 1-line block ×4, first 2 shown]
	v_fma_f16 v16, v16, 2.0, -v14
	v_fma_f16 v28, v39, 2.0, -v20
	;; [unrolled: 1-line block ×4, first 2 shown]
	v_sub_f16_e32 v27, v16, v27
	v_sub_f16_e32 v7, v28, v7
	v_fma_f16 v16, v16, 2.0, -v27
	v_fma_f16 v28, v28, 2.0, -v7
	v_pack_b32_f16 v16, v16, v28
	v_fma_f16 v28, v38, 2.0, -v49
	v_fma_f16 v34, v35, 2.0, -v11
	v_pack_b32_f16 v28, v28, v34
	ds_read2st64_b32 v[34:35], v57 offset0:32 offset1:40
	ds_read2st64_b32 v[38:39], v57 offset0:80 offset1:88
	;; [unrolled: 1-line block ×4, first 2 shown]
	s_waitcnt lgkmcnt(0)
	s_barrier
	ds_write2_b32 v81, v16, v28 offset1:8
	v_fma_f16 v16, v40, s12, v48
	v_fma_f16 v16, v13, s9, v16
	;; [unrolled: 1-line block ×3, first 2 shown]
	v_sub_f16_e32 v28, v14, v36
	v_add_f16_e32 v9, v20, v9
	v_fma_f16 v13, v40, s12, v13
	v_fma_f16 v14, v14, 2.0, -v28
	v_fma_f16 v20, v20, 2.0, -v9
	v_pack_b32_f16 v7, v27, v7
	v_pack_b32_f16 v11, v49, v11
	;; [unrolled: 1-line block ×3, first 2 shown]
	v_fma_f16 v20, v48, 2.0, -v16
	v_fma_f16 v18, v18, 2.0, -v13
	ds_write2_b32 v81, v7, v11 offset0:32 offset1:40
	v_pack_b32_f16 v7, v28, v9
	v_pack_b32_f16 v9, v16, v13
	;; [unrolled: 1-line block ×3, first 2 shown]
	ds_write2_b32 v81, v7, v9 offset0:48 offset1:56
	v_lshrrev_b32_e32 v7, 16, v15
	v_mul_f16_sdwa v11, v15, v3 dst_sel:DWORD dst_unused:UNUSED_PAD src0_sel:DWORD src1_sel:WORD_1
	ds_write2_b32 v81, v14, v18 offset0:16 offset1:24
	v_mul_f16_sdwa v9, v7, v3 dst_sel:DWORD dst_unused:UNUSED_PAD src0_sel:DWORD src1_sel:WORD_1
	v_fma_f16 v7, v7, v3, v11
	v_lshrrev_b32_e32 v11, 16, v17
	v_mul_f16_sdwa v14, v17, v5 dst_sel:DWORD dst_unused:UNUSED_PAD src0_sel:DWORD src1_sel:WORD_1
	v_mul_f16_sdwa v13, v11, v5 dst_sel:DWORD dst_unused:UNUSED_PAD src0_sel:DWORD src1_sel:WORD_1
	v_fma_f16 v11, v11, v5, v14
	v_lshrrev_b32_e32 v14, 16, v19
	v_fma_f16 v9, v15, v3, -v9
	v_mul_f16_sdwa v15, v14, v23 dst_sel:DWORD dst_unused:UNUSED_PAD src0_sel:DWORD src1_sel:WORD_1
	v_fma_f16 v13, v17, v5, -v13
	v_fma_f16 v15, v19, v23, -v15
	v_mul_f16_sdwa v16, v19, v23 dst_sel:DWORD dst_unused:UNUSED_PAD src0_sel:DWORD src1_sel:WORD_1
	v_lshrrev_b32_e32 v18, 16, v34
	v_mul_f16_sdwa v19, v34, v2 dst_sel:DWORD dst_unused:UNUSED_PAD src0_sel:DWORD src1_sel:WORD_1
	v_sub_f16_e32 v13, v21, v13
	v_fma_f16 v19, v18, v2, v19
	v_mul_f16_sdwa v18, v18, v2 dst_sel:DWORD dst_unused:UNUSED_PAD src0_sel:DWORD src1_sel:WORD_1
	v_lshrrev_b32_e32 v27, 16, v44
	v_mul_f16_sdwa v28, v44, v22 dst_sel:DWORD dst_unused:UNUSED_PAD src0_sel:DWORD src1_sel:WORD_1
	v_fma_f16 v14, v14, v23, v16
	v_lshrrev_b32_e32 v16, 16, v21
	v_fma_f16 v17, v21, 2.0, -v13
	v_fma_f16 v18, v34, v2, -v18
	v_lshrrev_b32_e32 v20, 16, v38
	v_mul_f16_sdwa v21, v38, v4 dst_sel:DWORD dst_unused:UNUSED_PAD src0_sel:DWORD src1_sel:WORD_1
	v_fma_f16 v28, v27, v22, v28
	v_mul_f16_sdwa v27, v27, v22 dst_sel:DWORD dst_unused:UNUSED_PAD src0_sel:DWORD src1_sel:WORD_1
	v_lshrrev_b32_e32 v34, 16, v46
	v_mul_f16_sdwa v36, v46, v24 dst_sel:DWORD dst_unused:UNUSED_PAD src0_sel:DWORD src1_sel:WORD_1
	v_fma_f16 v21, v20, v4, v21
	v_mul_f16_sdwa v20, v20, v4 dst_sel:DWORD dst_unused:UNUSED_PAD src0_sel:DWORD src1_sel:WORD_1
	v_fma_f16 v27, v44, v22, -v27
	v_fma_f16 v36, v34, v24, v36
	v_mul_f16_sdwa v34, v34, v24 dst_sel:DWORD dst_unused:UNUSED_PAD src0_sel:DWORD src1_sel:WORD_1
	v_fma_f16 v20, v38, v4, -v20
	v_fma_f16 v34, v46, v24, -v34
	v_sub_f16_e32 v14, v7, v14
	v_sub_f16_e32 v27, v18, v27
	;; [unrolled: 1-line block ×5, first 2 shown]
	v_fma_f16 v7, v7, 2.0, -v14
	v_sub_f16_e32 v28, v19, v28
	v_sub_f16_e32 v34, v20, v34
	v_fma_f16 v21, v21, 2.0, -v36
	v_sub_f16_e32 v14, v13, v14
	v_sub_f16_e32 v36, v27, v36
	v_fma_f16 v9, v9, 2.0, -v15
	v_fma_f16 v18, v18, 2.0, -v27
	;; [unrolled: 1-line block ×3, first 2 shown]
	v_add_f16_e32 v15, v11, v15
	v_fma_f16 v13, v13, 2.0, -v14
	v_add_f16_e32 v34, v28, v34
	v_fma_f16 v27, v27, 2.0, -v36
	v_fma_f16 v16, v16, 2.0, -v11
	;; [unrolled: 1-line block ×5, first 2 shown]
	v_fma_f16 v38, v27, s9, v13
	v_fma_f16 v38, v28, s9, v38
	;; [unrolled: 1-line block ×4, first 2 shown]
	v_sub_f16_e32 v9, v17, v9
	v_sub_f16_e32 v7, v16, v7
	;; [unrolled: 1-line block ×4, first 2 shown]
	v_fma_f16 v17, v17, 2.0, -v9
	v_fma_f16 v16, v16, 2.0, -v7
	;; [unrolled: 1-line block ×6, first 2 shown]
	v_sub_f16_e32 v18, v17, v18
	v_sub_f16_e32 v19, v16, v19
	v_pack_b32_f16 v11, v13, v11
	v_lshlrev_b32_e32 v13, 3, v32
	v_fma_f16 v17, v17, 2.0, -v18
	v_fma_f16 v16, v16, 2.0, -v19
	v_and_or_b32 v13, v13, s8, v26
	v_pack_b32_f16 v16, v17, v16
	v_lshlrev_b32_e32 v84, 2, v13
	ds_write2_b32 v84, v16, v11 offset1:8
	v_fma_f16 v11, v36, s12, v14
	v_fma_f16 v13, v34, s12, v15
	v_sub_f16_e32 v16, v9, v21
	v_add_f16_e32 v17, v7, v20
	v_fma_f16 v11, v34, s9, v11
	v_fma_f16 v13, v36, s12, v13
	v_fma_f16 v9, v9, 2.0, -v16
	v_fma_f16 v7, v7, 2.0, -v17
	v_pack_b32_f16 v7, v9, v7
	v_fma_f16 v9, v14, 2.0, -v11
	v_fma_f16 v14, v15, 2.0, -v13
	v_pack_b32_f16 v9, v9, v14
	ds_write2_b32 v84, v7, v9 offset0:16 offset1:24
	v_pack_b32_f16 v7, v18, v19
	v_pack_b32_f16 v9, v38, v27
	ds_write2_b32 v84, v7, v9 offset0:32 offset1:40
	v_pack_b32_f16 v7, v16, v17
	v_pack_b32_f16 v9, v11, v13
	ds_write2_b32 v84, v7, v9 offset0:48 offset1:56
	v_lshrrev_b32_e32 v7, 16, v35
	v_mul_f16_sdwa v11, v35, v2 dst_sel:DWORD dst_unused:UNUSED_PAD src0_sel:DWORD src1_sel:WORD_1
	v_mul_f16_sdwa v9, v7, v2 dst_sel:DWORD dst_unused:UNUSED_PAD src0_sel:DWORD src1_sel:WORD_1
	v_fma_f16 v7, v7, v2, v11
	v_lshrrev_b32_e32 v11, 16, v8
	v_mul_f16_sdwa v13, v11, v3 dst_sel:DWORD dst_unused:UNUSED_PAD src0_sel:DWORD src1_sel:WORD_1
	v_fma_f16 v13, v8, v3, -v13
	v_mul_f16_sdwa v8, v8, v3 dst_sel:DWORD dst_unused:UNUSED_PAD src0_sel:DWORD src1_sel:WORD_1
	v_fma_f16 v8, v11, v3, v8
	v_lshrrev_b32_e32 v11, 16, v39
	v_mul_f16_sdwa v15, v39, v4 dst_sel:DWORD dst_unused:UNUSED_PAD src0_sel:DWORD src1_sel:WORD_1
	v_mul_f16_sdwa v14, v11, v4 dst_sel:DWORD dst_unused:UNUSED_PAD src0_sel:DWORD src1_sel:WORD_1
	v_fma_f16 v11, v11, v4, v15
	v_lshrrev_b32_e32 v15, 16, v10
	v_mul_f16_sdwa v16, v15, v5 dst_sel:DWORD dst_unused:UNUSED_PAD src0_sel:DWORD src1_sel:WORD_1
	v_fma_f16 v16, v10, v5, -v16
	v_mul_f16_sdwa v10, v10, v5 dst_sel:DWORD dst_unused:UNUSED_PAD src0_sel:DWORD src1_sel:WORD_1
	v_fma_f16 v10, v15, v5, v10
	;; [unrolled: 9-line block ×3, first 2 shown]
	v_lshrrev_b32_e32 v18, 16, v47
	v_mul_f16_sdwa v21, v47, v24 dst_sel:DWORD dst_unused:UNUSED_PAD src0_sel:DWORD src1_sel:WORD_1
	v_fma_f16 v9, v35, v2, -v9
	v_fma_f16 v17, v45, v22, -v17
	v_mul_f16_sdwa v20, v18, v24 dst_sel:DWORD dst_unused:UNUSED_PAD src0_sel:DWORD src1_sel:WORD_1
	v_fma_f16 v18, v18, v24, v21
	v_fma_f16 v14, v39, v4, -v14
	v_fma_f16 v20, v47, v24, -v20
	v_sub_f16_e32 v16, v6, v16
	v_lshrrev_b32_e32 v21, 16, v6
	v_sub_f16_e32 v12, v8, v12
	v_sub_f16_e32 v17, v9, v17
	;; [unrolled: 1-line block ×5, first 2 shown]
	v_fma_f16 v8, v8, 2.0, -v12
	v_sub_f16_e32 v15, v7, v15
	v_sub_f16_e32 v20, v14, v20
	v_fma_f16 v11, v11, 2.0, -v18
	v_sub_f16_e32 v12, v16, v12
	v_sub_f16_e32 v18, v17, v18
	v_fma_f16 v6, v6, 2.0, -v16
	v_fma_f16 v21, v21, 2.0, -v10
	;; [unrolled: 1-line block ×6, first 2 shown]
	v_add_f16_e32 v19, v10, v19
	v_fma_f16 v16, v16, 2.0, -v12
	v_add_f16_e32 v20, v15, v20
	v_fma_f16 v17, v17, 2.0, -v18
	v_fma_f16 v10, v10, 2.0, -v19
	v_fma_f16 v15, v15, 2.0, -v20
	v_fma_f16 v27, v17, s9, v16
	v_sub_f16_e32 v13, v6, v13
	v_sub_f16_e32 v8, v21, v8
	;; [unrolled: 1-line block ×4, first 2 shown]
	v_fma_f16 v27, v15, s9, v27
	v_fma_f16 v15, v15, s9, v10
	v_fma_f16 v6, v6, 2.0, -v13
	v_fma_f16 v21, v21, 2.0, -v8
	;; [unrolled: 1-line block ×4, first 2 shown]
	v_fma_f16 v15, v17, s12, v15
	s_movk_i32 s8, 0x2fc0
	v_lshlrev_b32_e32 v17, 3, v31
	v_sub_f16_e32 v9, v6, v9
	v_sub_f16_e32 v7, v21, v7
	v_and_or_b32 v17, v17, s8, v26
	v_fma_f16 v6, v6, 2.0, -v9
	v_fma_f16 v21, v21, 2.0, -v7
	;; [unrolled: 1-line block ×4, first 2 shown]
	v_pack_b32_f16 v6, v6, v21
	v_pack_b32_f16 v10, v16, v10
	v_lshlrev_b32_e32 v90, 2, v17
	ds_write2_b32 v90, v6, v10 offset1:8
	v_fma_f16 v6, v18, s12, v12
	v_fma_f16 v10, v20, s12, v19
	v_sub_f16_e32 v11, v13, v11
	v_add_f16_e32 v14, v8, v14
	v_fma_f16 v6, v20, s9, v6
	v_fma_f16 v10, v18, s12, v10
	v_fma_f16 v13, v13, 2.0, -v11
	v_fma_f16 v8, v8, 2.0, -v14
	v_pack_b32_f16 v8, v13, v8
	v_fma_f16 v12, v12, 2.0, -v6
	v_fma_f16 v13, v19, 2.0, -v10
	v_pack_b32_f16 v12, v12, v13
	ds_write2_b32 v90, v8, v12 offset0:16 offset1:24
	v_pack_b32_f16 v7, v9, v7
	v_pack_b32_f16 v8, v27, v15
	ds_write2_b32 v90, v7, v8 offset0:32 offset1:40
	v_pack_b32_f16 v7, v11, v14
	v_pack_b32_f16 v6, v6, v10
	v_and_b32_e32 v36, 63, v0
	ds_write2_b32 v90, v7, v6 offset0:48 offset1:56
	v_mad_u64_u32 v[6:7], s[14:15], v36, 12, s[10:11]
	s_waitcnt lgkmcnt(0)
	s_barrier
	global_load_dwordx3 v[26:28], v[6:7], off offset:224
	ds_read2st64_b32 v[6:7], v57 offset0:48 offset1:56
	ds_read2st64_b32 v[8:9], v57 offset0:96 offset1:104
	s_movk_i32 s8, 0x700
	v_and_or_b32 v49, v57, s8, v36
	v_lshlrev_b32_e32 v85, 2, v49
	s_waitcnt lgkmcnt(1)
	v_lshrrev_b32_e32 v10, 16, v6
	s_waitcnt lgkmcnt(0)
	v_lshrrev_b32_e32 v12, 16, v8
	s_movk_i32 s8, 0xf00
	v_lshrrev_b32_e32 v31, 8, v31
	v_mul_u32_u24_e32 v31, 0x600, v31
	s_waitcnt vmcnt(0)
	v_mul_f16_sdwa v11, v6, v26 dst_sel:DWORD dst_unused:UNUSED_PAD src0_sel:DWORD src1_sel:WORD_1
	v_fma_f16 v14, v10, v26, v11
	v_mul_f16_sdwa v10, v10, v26 dst_sel:DWORD dst_unused:UNUSED_PAD src0_sel:DWORD src1_sel:WORD_1
	v_fma_f16 v6, v6, v26, -v10
	ds_read2st64_b32 v[10:11], v57 offset0:144 offset1:152
	v_mul_f16_sdwa v13, v8, v27 dst_sel:DWORD dst_unused:UNUSED_PAD src0_sel:DWORD src1_sel:WORD_1
	v_fma_f16 v15, v12, v27, v13
	v_mul_f16_sdwa v12, v12, v27 dst_sel:DWORD dst_unused:UNUSED_PAD src0_sel:DWORD src1_sel:WORD_1
	v_fma_f16 v8, v8, v27, -v12
	ds_read2st64_b32 v[12:13], v57 offset1:8
	s_waitcnt lgkmcnt(1)
	v_lshrrev_b32_e32 v16, 16, v10
	v_mul_f16_sdwa v17, v10, v28 dst_sel:DWORD dst_unused:UNUSED_PAD src0_sel:DWORD src1_sel:WORD_1
	v_fma_f16 v17, v16, v28, v17
	v_mul_f16_sdwa v16, v16, v28 dst_sel:DWORD dst_unused:UNUSED_PAD src0_sel:DWORD src1_sel:WORD_1
	v_fma_f16 v10, v10, v28, -v16
	s_waitcnt lgkmcnt(0)
	v_lshrrev_b32_e32 v16, 16, v12
	v_sub_f16_e32 v8, v12, v8
	v_sub_f16_e32 v15, v16, v15
	;; [unrolled: 1-line block ×4, first 2 shown]
	v_fma_f16 v16, v16, 2.0, -v15
	v_fma_f16 v6, v6, 2.0, -v10
	;; [unrolled: 1-line block ×4, first 2 shown]
	v_sub_f16_e32 v6, v12, v6
	v_sub_f16_e32 v40, v16, v14
	v_fma_f16 v12, v12, 2.0, -v6
	v_fma_f16 v14, v16, 2.0, -v40
	v_sub_f16_e32 v48, v8, v17
	v_add_f16_e32 v10, v15, v10
	v_pack_b32_f16 v12, v12, v14
	v_fma_f16 v8, v8, 2.0, -v48
	v_fma_f16 v14, v15, 2.0, -v10
	v_pack_b32_f16 v8, v8, v14
	ds_read2st64_b32 v[14:15], v57 offset0:16 offset1:24
	ds_read2st64_b32 v[16:17], v57 offset0:64 offset1:72
	;; [unrolled: 1-line block ×8, first 2 shown]
	s_waitcnt lgkmcnt(0)
	s_barrier
	ds_write2st64_b32 v85, v12, v8 offset1:1
	v_pack_b32_f16 v6, v6, v40
	v_pack_b32_f16 v8, v48, v10
	ds_write2st64_b32 v85, v6, v8 offset0:2 offset1:3
	v_lshrrev_b32_e32 v6, 16, v7
	v_mul_f16_sdwa v8, v6, v26 dst_sel:DWORD dst_unused:UNUSED_PAD src0_sel:DWORD src1_sel:WORD_1
	v_fma_f16 v8, v7, v26, -v8
	v_mul_f16_sdwa v7, v7, v26 dst_sel:DWORD dst_unused:UNUSED_PAD src0_sel:DWORD src1_sel:WORD_1
	v_fma_f16 v6, v6, v26, v7
	v_lshrrev_b32_e32 v7, 16, v9
	v_mul_f16_sdwa v10, v7, v27 dst_sel:DWORD dst_unused:UNUSED_PAD src0_sel:DWORD src1_sel:WORD_1
	v_fma_f16 v10, v9, v27, -v10
	v_mul_f16_sdwa v9, v9, v27 dst_sel:DWORD dst_unused:UNUSED_PAD src0_sel:DWORD src1_sel:WORD_1
	v_fma_f16 v7, v7, v27, v9
	;; [unrolled: 5-line block ×3, first 2 shown]
	v_lshrrev_b32_e32 v11, 16, v13
	v_sub_f16_e32 v10, v13, v10
	v_sub_f16_e32 v7, v11, v7
	;; [unrolled: 1-line block ×4, first 2 shown]
	v_fma_f16 v8, v8, 2.0, -v12
	v_fma_f16 v6, v6, 2.0, -v9
	v_sub_f16_e32 v9, v10, v9
	v_add_f16_e32 v12, v7, v12
	v_fma_f16 v13, v13, 2.0, -v10
	v_fma_f16 v11, v11, 2.0, -v7
	v_fma_f16 v10, v10, 2.0, -v9
	v_fma_f16 v7, v7, 2.0, -v12
	v_sub_f16_e32 v8, v13, v8
	v_sub_f16_e32 v6, v11, v6
	v_pack_b32_f16 v7, v10, v7
	v_lshlrev_b32_e32 v10, 2, v32
	v_fma_f16 v13, v13, 2.0, -v8
	v_fma_f16 v11, v11, 2.0, -v6
	v_and_or_b32 v10, v10, s8, v36
	v_pack_b32_f16 v11, v13, v11
	v_lshlrev_b32_e32 v89, 2, v10
	ds_write2st64_b32 v89, v11, v7 offset1:1
	v_pack_b32_f16 v6, v8, v6
	v_pack_b32_f16 v7, v9, v12
	ds_write2st64_b32 v89, v6, v7 offset0:2 offset1:3
	v_lshrrev_b32_e32 v6, 16, v16
	v_mul_f16_sdwa v7, v16, v26 dst_sel:DWORD dst_unused:UNUSED_PAD src0_sel:DWORD src1_sel:WORD_1
	v_lshrrev_b32_e32 v8, 16, v18
	v_mul_f16_sdwa v9, v18, v27 dst_sel:DWORD dst_unused:UNUSED_PAD src0_sel:DWORD src1_sel:WORD_1
	;; [unrolled: 2-line block ×3, first 2 shown]
	v_fma_f16 v7, v6, v26, v7
	v_mul_f16_sdwa v6, v6, v26 dst_sel:DWORD dst_unused:UNUSED_PAD src0_sel:DWORD src1_sel:WORD_1
	v_fma_f16 v9, v8, v27, v9
	v_mul_f16_sdwa v8, v8, v27 dst_sel:DWORD dst_unused:UNUSED_PAD src0_sel:DWORD src1_sel:WORD_1
	;; [unrolled: 2-line block ×3, first 2 shown]
	v_fma_f16 v6, v16, v26, -v6
	v_fma_f16 v8, v18, v27, -v8
	;; [unrolled: 1-line block ×3, first 2 shown]
	v_lshrrev_b32_e32 v12, 16, v14
	v_sub_f16_e32 v8, v14, v8
	v_sub_f16_e32 v9, v12, v9
	;; [unrolled: 1-line block ×4, first 2 shown]
	v_fma_f16 v12, v12, 2.0, -v9
	v_fma_f16 v6, v6, 2.0, -v10
	;; [unrolled: 1-line block ×4, first 2 shown]
	v_sub_f16_e32 v11, v8, v11
	v_add_f16_e32 v10, v9, v10
	v_sub_f16_e32 v6, v13, v6
	v_sub_f16_e32 v7, v12, v7
	v_fma_f16 v8, v8, 2.0, -v11
	v_fma_f16 v9, v9, 2.0, -v10
	s_movk_i32 s8, 0x1700
	v_fma_f16 v13, v13, 2.0, -v6
	v_fma_f16 v12, v12, 2.0, -v7
	v_pack_b32_f16 v8, v8, v9
	v_and_or_b32 v9, v110, s8, v36
	v_pack_b32_f16 v12, v13, v12
	v_lshlrev_b32_e32 v91, 2, v9
	v_pack_b32_f16 v6, v6, v7
	v_pack_b32_f16 v7, v11, v10
	ds_write2st64_b32 v91, v12, v8 offset1:1
	ds_write2st64_b32 v91, v6, v7 offset0:2 offset1:3
	v_lshrrev_b32_e32 v6, 16, v17
	v_mul_f16_sdwa v8, v17, v26 dst_sel:DWORD dst_unused:UNUSED_PAD src0_sel:DWORD src1_sel:WORD_1
	v_mul_f16_sdwa v7, v6, v26 dst_sel:DWORD dst_unused:UNUSED_PAD src0_sel:DWORD src1_sel:WORD_1
	v_fma_f16 v6, v6, v26, v8
	v_lshrrev_b32_e32 v8, 16, v19
	v_mul_f16_sdwa v10, v19, v27 dst_sel:DWORD dst_unused:UNUSED_PAD src0_sel:DWORD src1_sel:WORD_1
	v_mul_f16_sdwa v9, v8, v27 dst_sel:DWORD dst_unused:UNUSED_PAD src0_sel:DWORD src1_sel:WORD_1
	v_fma_f16 v8, v8, v27, v10
	v_lshrrev_b32_e32 v10, 16, v21
	v_mul_f16_sdwa v11, v10, v28 dst_sel:DWORD dst_unused:UNUSED_PAD src0_sel:DWORD src1_sel:WORD_1
	v_mul_f16_sdwa v12, v21, v28 dst_sel:DWORD dst_unused:UNUSED_PAD src0_sel:DWORD src1_sel:WORD_1
	v_fma_f16 v7, v17, v26, -v7
	v_fma_f16 v9, v19, v27, -v9
	;; [unrolled: 1-line block ×3, first 2 shown]
	v_fma_f16 v10, v10, v28, v12
	v_lshrrev_b32_e32 v12, 16, v15
	v_sub_f16_e32 v9, v15, v9
	v_sub_f16_e32 v8, v12, v8
	;; [unrolled: 1-line block ×4, first 2 shown]
	v_fma_f16 v13, v15, 2.0, -v9
	v_fma_f16 v12, v12, 2.0, -v8
	;; [unrolled: 1-line block ×4, first 2 shown]
	v_sub_f16_e32 v10, v9, v10
	v_add_f16_e32 v11, v8, v11
	v_sub_f16_e32 v7, v13, v7
	v_sub_f16_e32 v6, v12, v6
	v_fma_f16 v9, v9, 2.0, -v10
	v_fma_f16 v8, v8, 2.0, -v11
	s_movk_i32 s8, 0x1f00
	v_fma_f16 v13, v13, 2.0, -v7
	v_fma_f16 v12, v12, 2.0, -v6
	v_pack_b32_f16 v8, v9, v8
	v_and_or_b32 v9, v53, s8, v36
	v_pack_b32_f16 v12, v13, v12
	v_lshlrev_b32_e32 v93, 2, v9
	v_pack_b32_f16 v6, v7, v6
	v_pack_b32_f16 v7, v10, v11
	ds_write2st64_b32 v93, v12, v8 offset1:1
	ds_write2st64_b32 v93, v6, v7 offset0:2 offset1:3
	v_lshrrev_b32_e32 v6, 16, v38
	v_mul_f16_sdwa v7, v38, v26 dst_sel:DWORD dst_unused:UNUSED_PAD src0_sel:DWORD src1_sel:WORD_1
	v_lshrrev_b32_e32 v8, 16, v44
	v_mul_f16_sdwa v9, v44, v27 dst_sel:DWORD dst_unused:UNUSED_PAD src0_sel:DWORD src1_sel:WORD_1
	;; [unrolled: 2-line block ×3, first 2 shown]
	v_fma_f16 v7, v6, v26, v7
	v_mul_f16_sdwa v6, v6, v26 dst_sel:DWORD dst_unused:UNUSED_PAD src0_sel:DWORD src1_sel:WORD_1
	v_fma_f16 v9, v8, v27, v9
	v_mul_f16_sdwa v8, v8, v27 dst_sel:DWORD dst_unused:UNUSED_PAD src0_sel:DWORD src1_sel:WORD_1
	;; [unrolled: 2-line block ×3, first 2 shown]
	v_fma_f16 v6, v38, v26, -v6
	v_fma_f16 v8, v44, v27, -v8
	;; [unrolled: 1-line block ×3, first 2 shown]
	v_lshrrev_b32_e32 v12, 16, v34
	v_sub_f16_e32 v8, v34, v8
	v_sub_f16_e32 v9, v12, v9
	;; [unrolled: 1-line block ×4, first 2 shown]
	v_fma_f16 v12, v12, 2.0, -v9
	v_fma_f16 v6, v6, 2.0, -v10
	;; [unrolled: 1-line block ×4, first 2 shown]
	v_sub_f16_e32 v11, v8, v11
	v_add_f16_e32 v10, v9, v10
	v_sub_f16_e32 v6, v13, v6
	v_sub_f16_e32 v7, v12, v7
	v_fma_f16 v8, v8, 2.0, -v11
	v_fma_f16 v9, v9, 2.0, -v10
	s_movk_i32 s8, 0x2700
	v_fma_f16 v13, v13, 2.0, -v6
	v_fma_f16 v12, v12, 2.0, -v7
	v_pack_b32_f16 v8, v8, v9
	v_and_or_b32 v9, v54, s8, v36
	v_pack_b32_f16 v12, v13, v12
	v_lshlrev_b32_e32 v94, 2, v9
	v_pack_b32_f16 v6, v6, v7
	v_pack_b32_f16 v7, v11, v10
	ds_write2st64_b32 v94, v12, v8 offset1:1
	ds_write2st64_b32 v94, v6, v7 offset0:2 offset1:3
	v_lshrrev_b32_e32 v6, 16, v39
	v_mul_f16_sdwa v8, v39, v26 dst_sel:DWORD dst_unused:UNUSED_PAD src0_sel:DWORD src1_sel:WORD_1
	v_mul_f16_sdwa v7, v6, v26 dst_sel:DWORD dst_unused:UNUSED_PAD src0_sel:DWORD src1_sel:WORD_1
	v_fma_f16 v6, v6, v26, v8
	v_lshrrev_b32_e32 v8, 16, v45
	v_mul_f16_sdwa v10, v45, v27 dst_sel:DWORD dst_unused:UNUSED_PAD src0_sel:DWORD src1_sel:WORD_1
	v_mul_f16_sdwa v9, v8, v27 dst_sel:DWORD dst_unused:UNUSED_PAD src0_sel:DWORD src1_sel:WORD_1
	v_fma_f16 v8, v8, v27, v10
	v_lshrrev_b32_e32 v10, 16, v47
	v_mul_f16_sdwa v11, v10, v28 dst_sel:DWORD dst_unused:UNUSED_PAD src0_sel:DWORD src1_sel:WORD_1
	v_mul_f16_sdwa v12, v47, v28 dst_sel:DWORD dst_unused:UNUSED_PAD src0_sel:DWORD src1_sel:WORD_1
	v_fma_f16 v7, v39, v26, -v7
	v_fma_f16 v9, v45, v27, -v9
	;; [unrolled: 1-line block ×3, first 2 shown]
	v_fma_f16 v10, v10, v28, v12
	v_lshrrev_b32_e32 v12, 16, v35
	v_sub_f16_e32 v9, v35, v9
	v_sub_f16_e32 v8, v12, v8
	;; [unrolled: 1-line block ×4, first 2 shown]
	v_fma_f16 v13, v35, 2.0, -v9
	v_fma_f16 v12, v12, 2.0, -v8
	v_fma_f16 v7, v7, 2.0, -v11
	v_fma_f16 v6, v6, 2.0, -v10
	v_sub_f16_e32 v10, v9, v10
	v_add_f16_e32 v11, v8, v11
	v_sub_f16_e32 v7, v13, v7
	v_sub_f16_e32 v6, v12, v6
	v_fma_f16 v9, v9, 2.0, -v10
	v_fma_f16 v8, v8, 2.0, -v11
	s_movk_i32 s8, 0x2f00
	v_fma_f16 v13, v13, 2.0, -v7
	v_fma_f16 v12, v12, 2.0, -v6
	v_pack_b32_f16 v8, v9, v8
	v_and_or_b32 v9, v99, s8, v36
	v_and_b32_e32 v34, 0xff, v0
	v_pack_b32_f16 v12, v13, v12
	v_lshlrev_b32_e32 v101, 2, v9
	v_pack_b32_f16 v6, v7, v6
	v_pack_b32_f16 v7, v10, v11
	v_mad_u64_u32 v[10:11], s[14:15], v34, 20, s[10:11]
	ds_write2st64_b32 v101, v12, v8 offset1:1
	ds_write2st64_b32 v101, v6, v7 offset0:2 offset1:3
	s_waitcnt lgkmcnt(0)
	s_barrier
	global_load_dwordx4 v[6:9], v[10:11], off offset:992
	global_load_dword v76, v[10:11], off offset:1008
	ds_read2st64_b32 v[14:15], v57 offset0:64 offset1:72
	ds_read2st64_b32 v[12:13], v57 offset0:128 offset1:136
	ds_read2st64_b32 v[10:11], v57 offset1:8
	s_mov_b32 s14, 0xbaee
	v_or_b32_e32 v95, v95, v34
	s_waitcnt lgkmcnt(2)
	v_lshrrev_b32_e32 v16, 16, v14
	s_waitcnt lgkmcnt(1)
	v_lshrrev_b32_e32 v18, 16, v12
	;; [unrolled: 2-line block ×3, first 2 shown]
	v_lshlrev_b32_e32 v95, 2, v95
	v_lshrrev_b32_e32 v32, 8, v32
	v_mul_u32_u24_e32 v32, 0x600, v32
	v_or_b32_e32 v32, v32, v34
	v_or_b32_e32 v31, v31, v34
	s_movk_i32 s8, 0x1000
	s_waitcnt vmcnt(1)
	v_mul_f16_sdwa v17, v14, v7 dst_sel:DWORD dst_unused:UNUSED_PAD src0_sel:DWORD src1_sel:WORD_1
	v_mul_f16_sdwa v19, v12, v9 dst_sel:DWORD dst_unused:UNUSED_PAD src0_sel:DWORD src1_sel:WORD_1
	v_fma_f16 v17, v16, v7, v17
	v_fma_f16 v19, v18, v9, v19
	v_add_f16_e32 v21, v20, v17
	v_sub_f16_e32 v36, v17, v19
	v_add_f16_e32 v17, v17, v19
	v_mul_f16_sdwa v16, v16, v7 dst_sel:DWORD dst_unused:UNUSED_PAD src0_sel:DWORD src1_sel:WORD_1
	v_add_f16_e32 v35, v21, v19
	v_fma_f16 v40, v17, -0.5, v20
	v_fma_f16 v14, v14, v7, -v16
	v_mul_f16_sdwa v16, v18, v9 dst_sel:DWORD dst_unused:UNUSED_PAD src0_sel:DWORD src1_sel:WORD_1
	ds_read2st64_b32 v[20:21], v57 offset0:32 offset1:40
	v_fma_f16 v12, v12, v9, -v16
	v_add_f16_e32 v16, v10, v14
	ds_read2st64_b32 v[18:19], v57 offset0:96 offset1:104
	v_add_f16_e32 v96, v16, v12
	ds_read2st64_b32 v[16:17], v57 offset0:160 offset1:168
	v_add_f16_e32 v38, v14, v12
	v_sub_f16_e32 v12, v14, v12
	s_waitcnt lgkmcnt(2)
	v_lshrrev_b32_e32 v14, 16, v20
	v_mul_f16_sdwa v39, v20, v6 dst_sel:DWORD dst_unused:UNUSED_PAD src0_sel:DWORD src1_sel:WORD_1
	v_fma_f16 v39, v14, v6, v39
	s_waitcnt lgkmcnt(1)
	v_lshrrev_b32_e32 v44, 16, v18
	v_mul_f16_sdwa v14, v14, v6 dst_sel:DWORD dst_unused:UNUSED_PAD src0_sel:DWORD src1_sel:WORD_1
	s_waitcnt lgkmcnt(0)
	v_lshrrev_b32_e32 v46, 16, v16
	v_fma_f16 v14, v20, v6, -v14
	v_mul_f16_sdwa v20, v44, v8 dst_sel:DWORD dst_unused:UNUSED_PAD src0_sel:DWORD src1_sel:WORD_1
	v_mul_f16_sdwa v45, v18, v8 dst_sel:DWORD dst_unused:UNUSED_PAD src0_sel:DWORD src1_sel:WORD_1
	v_fma_f16 v18, v18, v8, -v20
	s_waitcnt vmcnt(0)
	v_mul_f16_sdwa v20, v46, v76 dst_sel:DWORD dst_unused:UNUSED_PAD src0_sel:DWORD src1_sel:WORD_1
	v_mul_f16_sdwa v47, v16, v76 dst_sel:DWORD dst_unused:UNUSED_PAD src0_sel:DWORD src1_sel:WORD_1
	v_fma_f16 v16, v16, v76, -v20
	v_fma_f16 v45, v44, v8, v45
	v_fma_f16 v47, v46, v76, v47
	v_add_f16_e32 v20, v18, v16
	v_add_f16_e32 v48, v39, v45
	v_sub_f16_e32 v109, v45, v47
	v_add_f16_e32 v45, v45, v47
	v_fma_f16 v20, v20, -0.5, v14
	v_add_f16_e32 v14, v14, v18
	v_fma_f16 v111, v45, -0.5, v39
	v_add_f16_e32 v14, v14, v16
	v_sub_f16_e32 v16, v18, v16
	v_fma_f16 v18, v109, s13, v20
	v_fma_f16 v10, v38, -0.5, v10
	v_fma_f16 v20, v109, s14, v20
	v_fma_f16 v39, v16, s14, v111
	;; [unrolled: 1-line block ×5, first 2 shown]
	v_mul_f16_e32 v36, -0.5, v20
	v_mul_f16_e32 v44, 0x3aee, v39
	v_fma_f16 v36, v16, s13, v36
	v_mul_f16_e32 v16, -0.5, v16
	v_add_f16_e32 v105, v48, v47
	v_fma_f16 v114, v18, 0.5, v44
	v_mul_f16_e32 v18, 0xbaee, v18
	v_fma_f16 v117, v12, s14, v40
	v_fma_f16 v12, v12, s13, v40
	;; [unrolled: 1-line block ×3, first 2 shown]
	v_fma_f16 v18, v39, 0.5, v18
	v_add_f16_e32 v39, v96, v14
	v_add_f16_e32 v44, v35, v105
	v_sub_f16_e32 v14, v96, v14
	v_sub_f16_e32 v20, v35, v105
	v_add_f16_e32 v35, v10, v36
	v_add_f16_e32 v40, v12, v16
	v_pack_b32_f16 v115, v39, v44
	v_add_f16_e32 v38, v116, v114
	v_add_f16_e32 v39, v117, v18
	v_pack_b32_f16 v35, v35, v40
	v_pack_b32_f16 v14, v14, v20
	;; [unrolled: 1-line block ×3, first 2 shown]
	ds_read2st64_b32 v[38:39], v57 offset0:16 offset1:24
	ds_read2st64_b32 v[44:45], v57 offset0:48 offset1:56
	;; [unrolled: 1-line block ×6, first 2 shown]
	s_waitcnt lgkmcnt(0)
	s_barrier
	ds_write2st64_b32 v95, v35, v14 offset0:8 offset1:12
	v_sub_f16_e32 v14, v116, v114
	v_sub_f16_e32 v10, v10, v36
	;; [unrolled: 1-line block ×4, first 2 shown]
	v_pack_b32_f16 v14, v14, v18
	v_pack_b32_f16 v10, v10, v12
	ds_write2st64_b32 v95, v14, v10 offset0:16 offset1:20
	v_lshrrev_b32_e32 v10, 16, v21
	v_mul_f16_sdwa v14, v21, v6 dst_sel:DWORD dst_unused:UNUSED_PAD src0_sel:DWORD src1_sel:WORD_1
	v_mul_f16_sdwa v12, v10, v6 dst_sel:DWORD dst_unused:UNUSED_PAD src0_sel:DWORD src1_sel:WORD_1
	v_fma_f16 v10, v10, v6, v14
	v_lshrrev_b32_e32 v14, 16, v15
	v_mul_f16_sdwa v16, v14, v7 dst_sel:DWORD dst_unused:UNUSED_PAD src0_sel:DWORD src1_sel:WORD_1
	v_fma_f16 v16, v15, v7, -v16
	v_mul_f16_sdwa v15, v15, v7 dst_sel:DWORD dst_unused:UNUSED_PAD src0_sel:DWORD src1_sel:WORD_1
	v_fma_f16 v14, v14, v7, v15
	v_lshrrev_b32_e32 v15, 16, v19
	v_mul_f16_sdwa v18, v15, v8 dst_sel:DWORD dst_unused:UNUSED_PAD src0_sel:DWORD src1_sel:WORD_1
	v_fma_f16 v18, v19, v8, -v18
	;; [unrolled: 5-line block ×3, first 2 shown]
	v_mul_f16_sdwa v13, v13, v9 dst_sel:DWORD dst_unused:UNUSED_PAD src0_sel:DWORD src1_sel:WORD_1
	v_fma_f16 v13, v19, v9, v13
	v_lshrrev_b32_e32 v19, 16, v17
	v_fma_f16 v12, v21, v6, -v12
	v_mul_f16_sdwa v21, v19, v76 dst_sel:DWORD dst_unused:UNUSED_PAD src0_sel:DWORD src1_sel:WORD_1
	v_fma_f16 v21, v17, v76, -v21
	v_mul_f16_sdwa v17, v17, v76 dst_sel:DWORD dst_unused:UNUSED_PAD src0_sel:DWORD src1_sel:WORD_1
	v_fma_f16 v17, v19, v76, v17
	v_add_f16_e32 v19, v16, v20
	v_lshrrev_b32_e32 v35, 16, v11
	v_fma_f16 v19, v19, -0.5, v11
	v_add_f16_e32 v11, v11, v16
	v_add_f16_e32 v36, v35, v14
	;; [unrolled: 1-line block ×3, first 2 shown]
	v_sub_f16_e32 v40, v14, v13
	v_add_f16_e32 v13, v14, v13
	v_add_f16_e32 v11, v11, v20
	v_sub_f16_e32 v14, v16, v20
	v_add_f16_e32 v16, v10, v15
	v_sub_f16_e32 v20, v15, v17
	v_add_f16_e32 v15, v15, v17
	v_fma_f16 v10, v15, -0.5, v10
	v_add_f16_e32 v15, v18, v21
	v_add_f16_e32 v16, v16, v17
	v_fma_f16 v15, v15, -0.5, v12
	v_add_f16_e32 v12, v12, v18
	v_sub_f16_e32 v17, v18, v21
	v_fma_f16 v13, v13, -0.5, v35
	v_add_f16_e32 v12, v12, v21
	v_fma_f16 v21, v17, s14, v10
	v_fma_f16 v18, v20, s13, v15
	v_mul_f16_e32 v35, 0x3aee, v21
	v_fma_f16 v109, v14, s14, v13
	v_fma_f16 v13, v14, s13, v13
	;; [unrolled: 1-line block ×3, first 2 shown]
	v_fma_f16 v35, v18, 0.5, v35
	v_mul_f16_e32 v18, 0xbaee, v18
	v_fma_f16 v10, v17, s13, v10
	v_mul_f16_e32 v15, -0.5, v14
	v_fma_f16 v18, v21, 0.5, v18
	v_add_f16_e32 v21, v11, v12
	v_add_f16_e32 v96, v36, v16
	v_fma_f16 v15, v10, s13, v15
	v_mul_f16_e32 v10, -0.5, v10
	v_pack_b32_f16 v21, v21, v96
	v_fma_f16 v96, v40, s13, v19
	v_fma_f16 v19, v40, s14, v19
	;; [unrolled: 1-line block ×3, first 2 shown]
	v_add_f16_e32 v105, v96, v35
	v_add_f16_e32 v111, v109, v18
	v_sub_f16_e32 v11, v11, v12
	v_sub_f16_e32 v12, v36, v16
	v_add_f16_e32 v14, v19, v15
	v_add_f16_e32 v16, v13, v10
	v_pack_b32_f16 v111, v105, v111
	v_lshlrev_b32_e32 v105, 2, v32
	v_pack_b32_f16 v14, v14, v16
	v_pack_b32_f16 v11, v11, v12
	ds_write2st64_b32 v95, v115, v118 offset1:4
	ds_write2st64_b32 v105, v14, v11 offset0:8 offset1:12
	v_sub_f16_e32 v11, v96, v35
	v_sub_f16_e32 v12, v19, v15
	;; [unrolled: 1-line block ×4, first 2 shown]
	v_pack_b32_f16 v11, v11, v14
	v_pack_b32_f16 v10, v12, v10
	ds_write2st64_b32 v105, v11, v10 offset0:16 offset1:20
	v_lshrrev_b32_e32 v10, 16, v46
	v_mul_f16_sdwa v11, v46, v7 dst_sel:DWORD dst_unused:UNUSED_PAD src0_sel:DWORD src1_sel:WORD_1
	v_fma_f16 v11, v10, v7, v11
	v_lshrrev_b32_e32 v12, 16, v50
	v_mul_f16_sdwa v13, v50, v9 dst_sel:DWORD dst_unused:UNUSED_PAD src0_sel:DWORD src1_sel:WORD_1
	v_lshrrev_b32_e32 v14, 16, v38
	v_mul_f16_sdwa v10, v10, v7 dst_sel:DWORD dst_unused:UNUSED_PAD src0_sel:DWORD src1_sel:WORD_1
	v_fma_f16 v13, v12, v9, v13
	v_add_f16_e32 v15, v14, v11
	v_fma_f16 v10, v46, v7, -v10
	v_mul_f16_sdwa v12, v12, v9 dst_sel:DWORD dst_unused:UNUSED_PAD src0_sel:DWORD src1_sel:WORD_1
	v_add_f16_e32 v15, v15, v13
	v_sub_f16_e32 v16, v11, v13
	v_add_f16_e32 v11, v11, v13
	v_fma_f16 v12, v50, v9, -v12
	v_add_f16_e32 v13, v38, v10
	ds_write2st64_b32 v105, v21, v111 offset1:4
	v_fma_f16 v11, v11, -0.5, v14
	v_add_f16_e32 v13, v13, v12
	v_add_f16_e32 v14, v10, v12
	v_sub_f16_e32 v10, v10, v12
	v_lshrrev_b32_e32 v12, 16, v44
	v_mul_f16_sdwa v17, v44, v6 dst_sel:DWORD dst_unused:UNUSED_PAD src0_sel:DWORD src1_sel:WORD_1
	v_lshrrev_b32_e32 v18, 16, v48
	v_mul_f16_sdwa v19, v48, v8 dst_sel:DWORD dst_unused:UNUSED_PAD src0_sel:DWORD src1_sel:WORD_1
	;; [unrolled: 2-line block ×3, first 2 shown]
	v_fma_f16 v17, v12, v6, v17
	v_fma_f16 v19, v18, v8, v19
	;; [unrolled: 1-line block ×3, first 2 shown]
	v_add_f16_e32 v32, v17, v19
	v_sub_f16_e32 v35, v19, v21
	v_add_f16_e32 v19, v19, v21
	v_fma_f16 v17, v19, -0.5, v17
	v_mul_f16_sdwa v18, v18, v8 dst_sel:DWORD dst_unused:UNUSED_PAD src0_sel:DWORD src1_sel:WORD_1
	v_mul_f16_sdwa v19, v20, v76 dst_sel:DWORD dst_unused:UNUSED_PAD src0_sel:DWORD src1_sel:WORD_1
	;; [unrolled: 1-line block ×3, first 2 shown]
	v_fma_f16 v18, v48, v8, -v18
	v_fma_f16 v19, v112, v76, -v19
	;; [unrolled: 1-line block ×3, first 2 shown]
	v_add_f16_e32 v20, v18, v19
	v_fma_f16 v20, v20, -0.5, v12
	v_add_f16_e32 v12, v12, v18
	v_sub_f16_e32 v18, v18, v19
	v_add_f16_e32 v32, v32, v21
	v_fma_f16 v21, v18, s14, v17
	v_add_f16_e32 v12, v12, v19
	v_fma_f16 v19, v35, s13, v20
	v_mul_f16_e32 v36, 0x3aee, v21
	v_fma_f16 v36, v19, 0.5, v36
	v_mul_f16_e32 v19, 0xbaee, v19
	v_fma_f16 v19, v21, 0.5, v19
	v_add_f16_e32 v21, v13, v12
	v_add_f16_e32 v40, v15, v32
	v_pack_b32_f16 v21, v21, v40
	v_fma_f16 v14, v14, -0.5, v38
	v_fma_f16 v40, v10, s14, v11
	v_fma_f16 v10, v10, s13, v11
	;; [unrolled: 1-line block ×6, first 2 shown]
	v_mul_f16_e32 v17, -0.5, v11
	v_fma_f16 v17, v16, s13, v17
	v_mul_f16_e32 v16, -0.5, v16
	v_fma_f16 v11, v11, s14, v16
	v_sub_f16_e32 v12, v13, v12
	v_sub_f16_e32 v13, v15, v32
	v_add_f16_e32 v15, v14, v17
	v_add_f16_e32 v16, v10, v11
	v_lshlrev_b32_e32 v96, 2, v31
	v_pack_b32_f16 v15, v15, v16
	v_pack_b32_f16 v12, v12, v13
	ds_write2st64_b32 v96, v15, v12 offset0:8 offset1:12
	v_sub_f16_e32 v12, v38, v36
	v_sub_f16_e32 v13, v14, v17
	;; [unrolled: 1-line block ×4, first 2 shown]
	v_pack_b32_f16 v11, v12, v14
	v_pack_b32_f16 v10, v13, v10
	ds_write2st64_b32 v96, v11, v10 offset0:16 offset1:20
	v_lshrrev_b32_e32 v10, 16, v45
	v_mul_f16_sdwa v12, v45, v6 dst_sel:DWORD dst_unused:UNUSED_PAD src0_sel:DWORD src1_sel:WORD_1
	v_mul_f16_sdwa v11, v10, v6 dst_sel:DWORD dst_unused:UNUSED_PAD src0_sel:DWORD src1_sel:WORD_1
	v_fma_f16 v10, v10, v6, v12
	v_lshrrev_b32_e32 v12, 16, v47
	v_mul_f16_sdwa v14, v47, v7 dst_sel:DWORD dst_unused:UNUSED_PAD src0_sel:DWORD src1_sel:WORD_1
	v_add_f16_e32 v44, v38, v36
	v_add_f16_e32 v46, v40, v19
	v_mul_f16_sdwa v13, v12, v7 dst_sel:DWORD dst_unused:UNUSED_PAD src0_sel:DWORD src1_sel:WORD_1
	v_fma_f16 v12, v12, v7, v14
	v_lshrrev_b32_e32 v14, 16, v49
	v_mul_f16_sdwa v16, v49, v8 dst_sel:DWORD dst_unused:UNUSED_PAD src0_sel:DWORD src1_sel:WORD_1
	v_pack_b32_f16 v44, v44, v46
	v_mul_f16_sdwa v15, v14, v8 dst_sel:DWORD dst_unused:UNUSED_PAD src0_sel:DWORD src1_sel:WORD_1
	v_fma_f16 v14, v14, v8, v16
	v_lshrrev_b32_e32 v16, 16, v51
	v_mul_f16_sdwa v18, v51, v9 dst_sel:DWORD dst_unused:UNUSED_PAD src0_sel:DWORD src1_sel:WORD_1
	ds_write2st64_b32 v96, v21, v44 offset1:4
	v_fma_f16 v13, v47, v7, -v13
	v_mul_f16_sdwa v17, v16, v9 dst_sel:DWORD dst_unused:UNUSED_PAD src0_sel:DWORD src1_sel:WORD_1
	v_fma_f16 v16, v16, v9, v18
	v_lshrrev_b32_e32 v18, 16, v113
	v_mul_f16_sdwa v20, v113, v76 dst_sel:DWORD dst_unused:UNUSED_PAD src0_sel:DWORD src1_sel:WORD_1
	v_lshrrev_b32_e32 v21, 16, v39
	v_fma_f16 v17, v51, v9, -v17
	v_mul_f16_sdwa v19, v18, v76 dst_sel:DWORD dst_unused:UNUSED_PAD src0_sel:DWORD src1_sel:WORD_1
	v_fma_f16 v18, v18, v76, v20
	v_add_f16_e32 v31, v39, v13
	v_add_f16_e32 v32, v21, v12
	v_sub_f16_e32 v35, v12, v16
	v_add_f16_e32 v12, v12, v16
	v_fma_f16 v15, v49, v8, -v15
	v_fma_f16 v19, v113, v76, -v19
	v_add_f16_e32 v20, v13, v17
	v_add_f16_e32 v32, v32, v16
	v_fma_f16 v12, v12, -0.5, v21
	v_add_f16_e32 v16, v31, v17
	v_sub_f16_e32 v13, v13, v17
	v_add_f16_e32 v17, v10, v14
	v_sub_f16_e32 v21, v14, v18
	v_add_f16_e32 v14, v14, v18
	v_fma_f16 v11, v45, v6, -v11
	v_fma_f16 v10, v14, -0.5, v10
	v_add_f16_e32 v14, v15, v19
	v_fma_f16 v14, v14, -0.5, v11
	v_add_f16_e32 v11, v11, v15
	v_sub_f16_e32 v15, v15, v19
	v_add_f16_e32 v11, v11, v19
	v_fma_f16 v19, v15, s14, v10
	v_add_f16_e32 v17, v17, v18
	v_fma_f16 v18, v21, s13, v14
	v_mul_f16_e32 v31, 0x3aee, v19
	v_fma_f16 v31, v18, 0.5, v31
	v_mul_f16_e32 v18, 0xbaee, v18
	v_fma_f16 v18, v19, 0.5, v18
	v_lshrrev_b32_e32 v19, 8, v30
	v_fma_f16 v36, v13, s14, v12
	v_fma_f16 v12, v13, s13, v12
	;; [unrolled: 1-line block ×3, first 2 shown]
	v_mul_u32_u24_e32 v19, 0x600, v19
	v_fma_f16 v10, v15, s13, v10
	v_mul_f16_e32 v14, -0.5, v13
	v_fma_f16 v20, v20, -0.5, v39
	v_or_b32_e32 v19, v19, v34
	v_fma_f16 v14, v10, s13, v14
	v_mul_f16_e32 v10, -0.5, v10
	v_lshlrev_b32_e32 v109, 2, v19
	v_fma_f16 v19, v35, s14, v20
	v_fma_f16 v10, v13, s14, v10
	v_add_f16_e32 v30, v16, v11
	v_add_f16_e32 v34, v32, v17
	v_sub_f16_e32 v11, v16, v11
	v_sub_f16_e32 v13, v32, v17
	v_add_f16_e32 v15, v19, v14
	v_add_f16_e32 v16, v12, v10
	v_pack_b32_f16 v30, v30, v34
	v_fma_f16 v34, v35, s13, v20
	v_add_f16_e32 v39, v36, v18
	v_pack_b32_f16 v15, v15, v16
	v_pack_b32_f16 v11, v11, v13
	v_sub_f16_e32 v13, v19, v14
	v_sub_f16_e32 v14, v36, v18
	v_mad_u64_u32 v[18:19], s[10:11], v0, 28, s[10:11]
	v_add_f16_e32 v38, v34, v31
	ds_write2st64_b32 v109, v15, v11 offset0:8 offset1:12
	v_sub_f16_e32 v11, v34, v31
	v_sub_f16_e32 v10, v12, v10
	v_add_co_u32_e32 v20, vcc, s8, v18
	v_pack_b32_f16 v38, v38, v39
	v_pack_b32_f16 v11, v11, v14
	;; [unrolled: 1-line block ×3, first 2 shown]
	v_addc_co_u32_e32 v21, vcc, 0, v19, vcc
	ds_write2st64_b32 v109, v30, v38 offset1:4
	ds_write2st64_b32 v109, v11, v10 offset0:16 offset1:20
	s_waitcnt lgkmcnt(0)
	s_barrier
	global_load_dwordx4 v[14:17], v[20:21], off offset:2016
	s_movk_i32 s8, 0x4000
	v_add_co_u32_e32 v38, vcc, s8, v18
	s_mov_b32 s8, 0x8000
	s_nop 0
	v_addc_co_u32_e32 v39, vcc, 0, v19, vcc
	global_load_dwordx4 v[10:13], v[38:39], off offset:4064
	global_load_dwordx3 v[34:36], v[20:21], off offset:2032
	global_load_dwordx3 v[30:32], v[38:39], off offset:4080
	ds_read2st64_b32 v[20:21], v57 offset0:48 offset1:56
	v_add_co_u32_e32 v38, vcc, s8, v18
	s_mov_b32 s10, 0xffff
	s_nop 0
	v_addc_co_u32_e32 v39, vcc, 0, v19, vcc
	s_waitcnt lgkmcnt(0)
	v_lshrrev_b32_e32 v18, 16, v20
	s_mul_i32 s11, s5, 0x1800
	s_waitcnt vmcnt(3)
	v_mul_f16_sdwa v19, v20, v15 dst_sel:DWORD dst_unused:UNUSED_PAD src0_sel:DWORD src1_sel:WORD_1
	v_fma_f16 v40, v18, v15, v19
	v_mul_f16_sdwa v18, v18, v15 dst_sel:DWORD dst_unused:UNUSED_PAD src0_sel:DWORD src1_sel:WORD_1
	v_fma_f16 v111, v20, v15, -v18
	ds_read2st64_b32 v[18:19], v57 offset0:96 offset1:104
	v_lshrrev_b32_e32 v20, 16, v21
	s_waitcnt vmcnt(2)
	v_mul_f16_sdwa v44, v20, v11 dst_sel:DWORD dst_unused:UNUSED_PAD src0_sel:DWORD src1_sel:WORD_1
	v_fma_f16 v120, v21, v11, -v44
	v_mul_f16_sdwa v21, v21, v11 dst_sel:DWORD dst_unused:UNUSED_PAD src0_sel:DWORD src1_sel:WORD_1
	v_fma_f16 v121, v20, v11, v21
	s_waitcnt lgkmcnt(0)
	v_lshrrev_b32_e32 v20, 16, v18
	v_mul_f16_sdwa v21, v18, v17 dst_sel:DWORD dst_unused:UNUSED_PAD src0_sel:DWORD src1_sel:WORD_1
	v_fma_f16 v112, v20, v17, v21
	v_mul_f16_sdwa v20, v20, v17 dst_sel:DWORD dst_unused:UNUSED_PAD src0_sel:DWORD src1_sel:WORD_1
	v_fma_f16 v44, v18, v17, -v20
	ds_read2st64_b32 v[20:21], v57 offset0:144 offset1:152
	v_lshrrev_b32_e32 v18, 16, v19
	v_mul_f16_sdwa v45, v18, v13 dst_sel:DWORD dst_unused:UNUSED_PAD src0_sel:DWORD src1_sel:WORD_1
	v_fma_f16 v45, v19, v13, -v45
	v_mul_f16_sdwa v19, v19, v13 dst_sel:DWORD dst_unused:UNUSED_PAD src0_sel:DWORD src1_sel:WORD_1
	v_fma_f16 v122, v18, v13, v19
	s_waitcnt lgkmcnt(0)
	v_lshrrev_b32_e32 v18, 16, v20
	s_waitcnt vmcnt(1)
	v_mul_f16_sdwa v19, v20, v35 dst_sel:DWORD dst_unused:UNUSED_PAD src0_sel:DWORD src1_sel:WORD_1
	v_fma_f16 v113, v18, v35, v19
	v_mul_f16_sdwa v18, v18, v35 dst_sel:DWORD dst_unused:UNUSED_PAD src0_sel:DWORD src1_sel:WORD_1
	v_fma_f16 v20, v20, v35, -v18
	ds_read2st64_b32 v[18:19], v57 offset1:8
	v_lshrrev_b32_e32 v46, 16, v21
	s_waitcnt vmcnt(0)
	v_mul_f16_sdwa v47, v46, v31 dst_sel:DWORD dst_unused:UNUSED_PAD src0_sel:DWORD src1_sel:WORD_1
	v_fma_f16 v123, v21, v31, -v47
	v_mul_f16_sdwa v21, v21, v31 dst_sel:DWORD dst_unused:UNUSED_PAD src0_sel:DWORD src1_sel:WORD_1
	s_waitcnt lgkmcnt(0)
	v_sub_f16_e32 v125, v18, v44
	v_sub_f16_e32 v126, v19, v45
	ds_read2st64_b32 v[44:45], v57 offset0:16 offset1:24
	v_fma_f16 v124, v46, v31, v21
	ds_read2st64_b32 v[46:47], v57 offset0:64 offset1:72
	v_lshrrev_b32_e32 v127, 16, v19
	v_fma_f16 v128, v19, 2.0, -v126
	s_waitcnt lgkmcnt(1)
	v_lshrrev_b32_e32 v19, 16, v45
	v_mul_f16_sdwa v48, v45, v14 dst_sel:DWORD dst_unused:UNUSED_PAD src0_sel:DWORD src1_sel:WORD_1
	v_fma_f16 v114, v19, v14, v48
	v_mul_f16_sdwa v19, v19, v14 dst_sel:DWORD dst_unused:UNUSED_PAD src0_sel:DWORD src1_sel:WORD_1
	ds_read2st64_b32 v[48:49], v57 offset0:112 offset1:120
	v_fma_f16 v19, v45, v14, -v19
	s_waitcnt lgkmcnt(1)
	v_lshrrev_b32_e32 v45, 16, v47
	v_mul_f16_sdwa v50, v47, v16 dst_sel:DWORD dst_unused:UNUSED_PAD src0_sel:DWORD src1_sel:WORD_1
	v_fma_f16 v115, v45, v16, v50
	ds_read2st64_b32 v[50:51], v57 offset0:160 offset1:168
	v_mul_f16_sdwa v45, v45, v16 dst_sel:DWORD dst_unused:UNUSED_PAD src0_sel:DWORD src1_sel:WORD_1
	v_fma_f16 v45, v47, v16, -v45
	s_waitcnt lgkmcnt(1)
	v_lshrrev_b32_e32 v47, 16, v49
	v_mul_f16_sdwa v116, v49, v34 dst_sel:DWORD dst_unused:UNUSED_PAD src0_sel:DWORD src1_sel:WORD_1
	v_fma_f16 v116, v47, v34, v116
	v_mul_f16_sdwa v47, v47, v34 dst_sel:DWORD dst_unused:UNUSED_PAD src0_sel:DWORD src1_sel:WORD_1
	v_fma_f16 v47, v49, v34, -v47
	s_waitcnt lgkmcnt(0)
	v_lshrrev_b32_e32 v49, 16, v51
	v_mul_f16_sdwa v117, v51, v36 dst_sel:DWORD dst_unused:UNUSED_PAD src0_sel:DWORD src1_sel:WORD_1
	v_lshrrev_b32_e32 v21, 16, v18
	v_fma_f16 v117, v49, v36, v117
	v_mul_f16_sdwa v49, v49, v36 dst_sel:DWORD dst_unused:UNUSED_PAD src0_sel:DWORD src1_sel:WORD_1
	v_fma_f16 v49, v51, v36, -v49
	v_sub_f16_e32 v51, v21, v112
	v_sub_f16_e32 v129, v111, v20
	v_sub_f16_e32 v130, v40, v113
	v_fma_f16 v18, v18, 2.0, -v125
	v_fma_f16 v21, v21, 2.0, -v51
	;; [unrolled: 1-line block ×4, first 2 shown]
	v_sub_f16_e32 v47, v19, v47
	v_sub_f16_e32 v49, v45, v49
	;; [unrolled: 1-line block ×3, first 2 shown]
	v_fma_f16 v112, v19, 2.0, -v47
	v_fma_f16 v19, v45, 2.0, -v49
	v_sub_f16_e32 v132, v18, v20
	v_sub_f16_e32 v133, v21, v40
	v_fma_f16 v113, v114, 2.0, -v111
	v_sub_f16_e32 v131, v115, v117
	v_fma_f16 v40, v18, 2.0, -v132
	v_fma_f16 v114, v21, 2.0, -v133
	v_sub_f16_e32 v134, v112, v19
	global_load_dwordx4 v[18:21], v[38:39], off offset:2016
	v_fma_f16 v45, v115, 2.0, -v131
	v_sub_f16_e32 v45, v113, v45
	v_fma_f16 v112, v112, 2.0, -v134
	v_fma_f16 v115, v113, 2.0, -v45
	v_sub_f16_e32 v135, v40, v112
	ds_read2st64_b32 v[112:113], v57 offset0:32 offset1:40
	v_sub_f16_e32 v136, v114, v115
	v_fma_f16 v40, v40, 2.0, -v135
	v_fma_f16 v114, v114, 2.0, -v136
	v_pack_b32_f16 v137, v40, v114
	ds_read2st64_b32 v[114:115], v57 offset0:80 offset1:88
	s_waitcnt lgkmcnt(1)
	v_lshrrev_b32_e32 v40, 16, v112
	v_mul_f16_sdwa v116, v112, v10 dst_sel:DWORD dst_unused:UNUSED_PAD src0_sel:DWORD src1_sel:WORD_1
	v_fma_f16 v138, v40, v10, v116
	v_mul_f16_sdwa v40, v40, v10 dst_sel:DWORD dst_unused:UNUSED_PAD src0_sel:DWORD src1_sel:WORD_1
	v_fma_f16 v112, v112, v10, -v40
	s_waitcnt lgkmcnt(0)
	v_lshrrev_b32_e32 v118, 16, v114
	v_mul_f16_sdwa v40, v114, v12 dst_sel:DWORD dst_unused:UNUSED_PAD src0_sel:DWORD src1_sel:WORD_1
	v_fma_f16 v139, v118, v12, v40
	global_load_dwordx3 v[38:40], v[38:39], off offset:2032
	ds_read2st64_b32 v[116:117], v57 offset0:128 offset1:136
	v_mul_f16_sdwa v118, v118, v12 dst_sel:DWORD dst_unused:UNUSED_PAD src0_sel:DWORD src1_sel:WORD_1
	v_fma_f16 v114, v114, v12, -v118
	ds_read2st64_b32 v[118:119], v57 offset0:176 offset1:184
	v_sub_f16_e32 v122, v127, v122
	s_waitcnt lgkmcnt(1)
	v_lshrrev_b32_e32 v140, 16, v116
	v_mul_f16_sdwa v141, v116, v30 dst_sel:DWORD dst_unused:UNUSED_PAD src0_sel:DWORD src1_sel:WORD_1
	v_fma_f16 v141, v140, v30, v141
	v_mul_f16_sdwa v140, v140, v30 dst_sel:DWORD dst_unused:UNUSED_PAD src0_sel:DWORD src1_sel:WORD_1
	v_fma_f16 v116, v116, v30, -v140
	s_waitcnt lgkmcnt(0)
	v_lshrrev_b32_e32 v140, 16, v118
	v_mul_f16_sdwa v142, v118, v32 dst_sel:DWORD dst_unused:UNUSED_PAD src0_sel:DWORD src1_sel:WORD_1
	v_fma_f16 v142, v140, v32, v142
	v_mul_f16_sdwa v140, v140, v32 dst_sel:DWORD dst_unused:UNUSED_PAD src0_sel:DWORD src1_sel:WORD_1
	v_fma_f16 v118, v118, v32, -v140
	v_sub_f16_e32 v123, v120, v123
	v_sub_f16_e32 v124, v121, v124
	;; [unrolled: 1-line block ×6, first 2 shown]
	v_fma_f16 v127, v127, 2.0, -v122
	v_fma_f16 v120, v120, 2.0, -v123
	;; [unrolled: 1-line block ×7, first 2 shown]
	v_sub_f16_e32 v120, v128, v120
	v_sub_f16_e32 v121, v127, v121
	;; [unrolled: 1-line block ×4, first 2 shown]
	v_fma_f16 v128, v128, 2.0, -v120
	v_fma_f16 v127, v127, 2.0, -v121
	;; [unrolled: 1-line block ×4, first 2 shown]
	v_sub_f16_e32 v112, v128, v112
	v_sub_f16_e32 v138, v127, v138
	v_fma_f16 v128, v128, 2.0, -v112
	v_fma_f16 v127, v127, 2.0, -v138
	v_pack_b32_f16 v127, v128, v127
	ds_write2st64_b32 v57, v137, v127 offset1:8
	v_sub_f16_e32 v45, v132, v45
	v_add_f16_e32 v127, v133, v134
	v_fma_f16 v128, v132, 2.0, -v45
	v_fma_f16 v132, v133, 2.0, -v127
	v_pack_b32_f16 v128, v128, v132
	v_sub_f16_e32 v132, v120, v139
	v_add_f16_e32 v114, v121, v114
	v_fma_f16 v120, v120, 2.0, -v132
	v_fma_f16 v121, v121, 2.0, -v114
	v_pack_b32_f16 v120, v120, v121
	ds_write2st64_b32 v57, v128, v120 offset0:48 offset1:56
	v_pack_b32_f16 v120, v135, v136
	v_pack_b32_f16 v112, v112, v138
	ds_write2st64_b32 v57, v120, v112 offset0:96 offset1:104
	v_pack_b32_f16 v45, v45, v127
	v_pack_b32_f16 v112, v132, v114
	ds_write2st64_b32 v57, v45, v112 offset0:144 offset1:152
	v_lshrrev_b32_e32 v45, 16, v113
	s_waitcnt vmcnt(1)
	v_mul_f16_sdwa v112, v45, v18 dst_sel:DWORD dst_unused:UNUSED_PAD src0_sel:DWORD src1_sel:WORD_1
	v_fma_f16 v112, v113, v18, -v112
	v_mul_f16_sdwa v113, v113, v18 dst_sel:DWORD dst_unused:UNUSED_PAD src0_sel:DWORD src1_sel:WORD_1
	v_fma_f16 v45, v45, v18, v113
	v_lshrrev_b32_e32 v113, 16, v46
	v_mul_f16_sdwa v114, v113, v19 dst_sel:DWORD dst_unused:UNUSED_PAD src0_sel:DWORD src1_sel:WORD_1
	v_fma_f16 v114, v46, v19, -v114
	v_mul_f16_sdwa v46, v46, v19 dst_sel:DWORD dst_unused:UNUSED_PAD src0_sel:DWORD src1_sel:WORD_1
	v_fma_f16 v46, v113, v19, v46
	v_lshrrev_b32_e32 v113, 16, v115
	;; [unrolled: 5-line block ×4, first 2 shown]
	s_waitcnt vmcnt(0)
	v_mul_f16_sdwa v127, v115, v38 dst_sel:DWORD dst_unused:UNUSED_PAD src0_sel:DWORD src1_sel:WORD_1
	v_fma_f16 v127, v117, v38, -v127
	v_mul_f16_sdwa v117, v117, v38 dst_sel:DWORD dst_unused:UNUSED_PAD src0_sel:DWORD src1_sel:WORD_1
	v_fma_f16 v115, v115, v38, v117
	v_lshrrev_b32_e32 v117, 16, v50
	v_mul_f16_sdwa v128, v117, v39 dst_sel:DWORD dst_unused:UNUSED_PAD src0_sel:DWORD src1_sel:WORD_1
	v_fma_f16 v128, v50, v39, -v128
	v_mul_f16_sdwa v50, v50, v39 dst_sel:DWORD dst_unused:UNUSED_PAD src0_sel:DWORD src1_sel:WORD_1
	v_fma_f16 v50, v117, v39, v50
	v_lshrrev_b32_e32 v117, 16, v119
	v_mul_f16_sdwa v132, v117, v40 dst_sel:DWORD dst_unused:UNUSED_PAD src0_sel:DWORD src1_sel:WORD_1
	v_fma_f16 v132, v119, v40, -v132
	v_mul_f16_sdwa v119, v119, v40 dst_sel:DWORD dst_unused:UNUSED_PAD src0_sel:DWORD src1_sel:WORD_1
	v_fma_f16 v117, v117, v40, v119
	v_sub_f16_e32 v119, v125, v130
	v_sub_f16_e32 v130, v47, v131
	v_add_f16_e32 v129, v51, v129
	v_fma_f16 v125, v125, 2.0, -v119
	v_add_f16_e32 v49, v111, v49
	v_fma_f16 v47, v47, 2.0, -v130
	v_fma_f16 v51, v51, 2.0, -v129
	;; [unrolled: 1-line block ×3, first 2 shown]
	v_fma_f16 v131, v47, s9, v125
	v_fma_f16 v131, v111, s9, v131
	;; [unrolled: 1-line block ×4, first 2 shown]
	v_sub_f16_e32 v111, v44, v121
	v_lshrrev_b32_e32 v121, 16, v44
	v_fma_f16 v125, v125, 2.0, -v131
	v_fma_f16 v51, v51, 2.0, -v47
	v_pack_b32_f16 v51, v125, v51
	v_sub_f16_e32 v48, v121, v48
	v_sub_f16_e32 v125, v114, v128
	;; [unrolled: 1-line block ×7, first 2 shown]
	v_fma_f16 v44, v44, 2.0, -v111
	v_fma_f16 v121, v121, 2.0, -v48
	;; [unrolled: 1-line block ×8, first 2 shown]
	v_sub_f16_e32 v114, v44, v114
	v_sub_f16_e32 v46, v121, v46
	;; [unrolled: 1-line block ×4, first 2 shown]
	v_fma_f16 v44, v44, 2.0, -v114
	v_fma_f16 v121, v121, 2.0, -v46
	;; [unrolled: 1-line block ×4, first 2 shown]
	v_sub_f16_e32 v112, v44, v112
	v_sub_f16_e32 v45, v121, v45
	v_fma_f16 v44, v44, 2.0, -v112
	v_fma_f16 v121, v121, 2.0, -v45
	v_pack_b32_f16 v44, v44, v121
	ds_write2st64_b32 v57, v44, v51 offset0:16 offset1:24
	v_sub_f16_e32 v44, v126, v124
	v_add_f16_e32 v51, v122, v123
	v_sub_f16_e32 v123, v116, v141
	v_fma_f16 v121, v126, 2.0, -v44
	v_add_f16_e32 v118, v140, v118
	v_fma_f16 v116, v116, 2.0, -v123
	v_fma_f16 v122, v122, 2.0, -v51
	;; [unrolled: 1-line block ×3, first 2 shown]
	v_fma_f16 v126, v116, s9, v121
	v_fma_f16 v126, v124, s9, v126
	;; [unrolled: 1-line block ×3, first 2 shown]
	v_sub_f16_e32 v50, v111, v50
	v_sub_f16_e32 v117, v127, v117
	v_fma_f16 v116, v116, s12, v124
	v_add_f16_e32 v124, v48, v125
	v_fma_f16 v111, v111, 2.0, -v50
	v_add_f16_e32 v125, v115, v128
	v_fma_f16 v127, v127, 2.0, -v117
	v_fma_f16 v48, v48, 2.0, -v124
	;; [unrolled: 1-line block ×3, first 2 shown]
	v_fma_f16 v128, v127, s9, v111
	v_fma_f16 v128, v115, s9, v128
	;; [unrolled: 1-line block ×4, first 2 shown]
	v_fma_f16 v121, v121, 2.0, -v126
	v_fma_f16 v122, v122, 2.0, -v116
	;; [unrolled: 1-line block ×4, first 2 shown]
	v_pack_b32_f16 v121, v121, v122
	v_pack_b32_f16 v48, v111, v48
	ds_write2st64_b32 v57, v121, v48 offset0:32 offset1:40
	v_fma_f16 v48, v130, s12, v119
	v_fma_f16 v48, v49, s9, v48
	v_fma_f16 v49, v49, s12, v129
	v_fma_f16 v49, v130, s12, v49
	v_fma_f16 v111, v119, 2.0, -v48
	v_fma_f16 v119, v129, 2.0, -v49
	v_pack_b32_f16 v111, v111, v119
	v_sub_f16_e32 v113, v114, v113
	v_add_f16_e32 v119, v46, v120
	v_fma_f16 v114, v114, 2.0, -v113
	v_fma_f16 v46, v46, 2.0, -v119
	v_pack_b32_f16 v46, v114, v46
	ds_write2st64_b32 v57, v46, v111 offset0:64 offset1:72
	v_fma_f16 v46, v123, s12, v44
	v_fma_f16 v111, v118, s12, v51
	v_fma_f16 v46, v118, s9, v46
	v_fma_f16 v111, v123, s12, v111
	v_fma_f16 v114, v117, s12, v50
	v_fma_f16 v118, v125, s12, v124
	v_fma_f16 v114, v125, s9, v114
	v_fma_f16 v117, v117, s12, v118
	v_fma_f16 v44, v44, 2.0, -v46
	v_fma_f16 v51, v51, 2.0, -v111
	v_pack_b32_f16 v44, v44, v51
	v_fma_f16 v50, v50, 2.0, -v114
	v_fma_f16 v51, v124, 2.0, -v117
	v_pack_b32_f16 v50, v50, v51
	ds_write2st64_b32 v57, v44, v50 offset0:80 offset1:88
	v_pack_b32_f16 v44, v131, v47
	v_pack_b32_f16 v45, v112, v45
	ds_write2st64_b32 v57, v45, v44 offset0:112 offset1:120
	v_pack_b32_f16 v44, v126, v116
	;; [unrolled: 3-line block ×4, first 2 shown]
	v_pack_b32_f16 v45, v114, v117
	ds_write2st64_b32 v57, v44, v45 offset0:176 offset1:184
	s_waitcnt lgkmcnt(0)
	s_barrier
	global_load_dword v46, v57, s[2:3]
	global_load_dword v47, v57, s[2:3] offset:2048
	global_load_dword v48, v55, s[2:3]
	global_load_dword v49, v87, s[2:3]
	;; [unrolled: 1-line block ×10, first 2 shown]
	ds_read2st64_b32 v[44:45], v57 offset1:8
	global_load_dword v53, v92, s[2:3]
	global_load_dword v55, v88, s[2:3]
	;; [unrolled: 1-line block ×5, first 2 shown]
	s_waitcnt lgkmcnt(0)
	v_lshrrev_b32_e32 v54, 16, v44
	s_waitcnt vmcnt(16)
	v_mul_f16_sdwa v80, v44, v46 dst_sel:DWORD dst_unused:UNUSED_PAD src0_sel:DWORD src1_sel:WORD_1
	v_fma_f16 v80, v54, v46, v80
	v_mul_f16_sdwa v54, v54, v46 dst_sel:DWORD dst_unused:UNUSED_PAD src0_sel:DWORD src1_sel:WORD_1
	v_fma_f16 v46, v44, v46, -v54
	v_lshrrev_b32_e32 v54, 16, v45
	s_waitcnt vmcnt(15)
	v_mul_f16_sdwa v44, v54, v47 dst_sel:DWORD dst_unused:UNUSED_PAD src0_sel:DWORD src1_sel:WORD_1
	v_fma_f16 v83, v45, v47, -v44
	v_mul_f16_sdwa v87, v45, v47 dst_sel:DWORD dst_unused:UNUSED_PAD src0_sel:DWORD src1_sel:WORD_1
	ds_read2st64_b32 v[44:45], v57 offset0:48 offset1:56
	v_fma_f16 v47, v54, v47, v87
	global_load_dword v54, v100, s[2:3]
	v_pack_b32_f16 v46, v46, v80
	v_pack_b32_f16 v47, v83, v47
	ds_write2st64_b32 v57, v46, v47 offset1:8
	s_waitcnt lgkmcnt(1)
	v_lshrrev_b32_e32 v46, 16, v44
	s_waitcnt vmcnt(15)
	v_mul_f16_sdwa v47, v44, v48 dst_sel:DWORD dst_unused:UNUSED_PAD src0_sel:DWORD src1_sel:WORD_1
	v_fma_f16 v47, v46, v48, v47
	v_mul_f16_sdwa v46, v46, v48 dst_sel:DWORD dst_unused:UNUSED_PAD src0_sel:DWORD src1_sel:WORD_1
	v_fma_f16 v46, v44, v48, -v46
	v_lshrrev_b32_e32 v48, 16, v45
	s_waitcnt vmcnt(14)
	v_mul_f16_sdwa v44, v48, v49 dst_sel:DWORD dst_unused:UNUSED_PAD src0_sel:DWORD src1_sel:WORD_1
	v_fma_f16 v80, v45, v49, -v44
	v_mul_f16_sdwa v83, v45, v49 dst_sel:DWORD dst_unused:UNUSED_PAD src0_sel:DWORD src1_sel:WORD_1
	ds_read2st64_b32 v[44:45], v57 offset0:96 offset1:104
	v_fma_f16 v48, v48, v49, v83
	v_pack_b32_f16 v46, v46, v47
	v_pack_b32_f16 v47, v80, v48
	global_load_dword v48, v102, s[2:3]
	ds_write2st64_b32 v57, v46, v47 offset0:48 offset1:56
	s_waitcnt lgkmcnt(1)
	v_lshrrev_b32_e32 v46, 16, v44
	s_waitcnt vmcnt(14)
	v_mul_f16_sdwa v47, v44, v50 dst_sel:DWORD dst_unused:UNUSED_PAD src0_sel:DWORD src1_sel:WORD_1
	v_fma_f16 v47, v46, v50, v47
	v_mul_f16_sdwa v46, v46, v50 dst_sel:DWORD dst_unused:UNUSED_PAD src0_sel:DWORD src1_sel:WORD_1
	v_lshrrev_b32_e32 v49, 16, v45
	v_fma_f16 v46, v44, v50, -v46
	s_waitcnt vmcnt(13)
	v_mul_f16_sdwa v44, v49, v51 dst_sel:DWORD dst_unused:UNUSED_PAD src0_sel:DWORD src1_sel:WORD_1
	v_fma_f16 v50, v45, v51, -v44
	v_mul_f16_sdwa v80, v45, v51 dst_sel:DWORD dst_unused:UNUSED_PAD src0_sel:DWORD src1_sel:WORD_1
	ds_read2st64_b32 v[44:45], v57 offset0:144 offset1:152
	v_fma_f16 v49, v49, v51, v80
	v_pack_b32_f16 v46, v46, v47
	v_pack_b32_f16 v47, v50, v49
	ds_write2st64_b32 v57, v46, v47 offset0:96 offset1:104
	global_load_dword v47, v103, s[2:3]
	s_waitcnt lgkmcnt(1)
	v_lshrrev_b32_e32 v46, 16, v44
	s_waitcnt vmcnt(13)
	v_mul_f16_sdwa v49, v44, v111 dst_sel:DWORD dst_unused:UNUSED_PAD src0_sel:DWORD src1_sel:WORD_1
	v_fma_f16 v49, v46, v111, v49
	v_mul_f16_sdwa v46, v46, v111 dst_sel:DWORD dst_unused:UNUSED_PAD src0_sel:DWORD src1_sel:WORD_1
	v_fma_f16 v46, v44, v111, -v46
	v_lshrrev_b32_e32 v44, 16, v45
	s_waitcnt vmcnt(12)
	v_mul_f16_sdwa v50, v44, v112 dst_sel:DWORD dst_unused:UNUSED_PAD src0_sel:DWORD src1_sel:WORD_1
	v_fma_f16 v50, v45, v112, -v50
	v_mul_f16_sdwa v45, v45, v112 dst_sel:DWORD dst_unused:UNUSED_PAD src0_sel:DWORD src1_sel:WORD_1
	v_fma_f16 v51, v44, v112, v45
	v_pack_b32_f16 v46, v46, v49
	v_pack_b32_f16 v49, v50, v51
	ds_write2st64_b32 v57, v46, v49 offset0:144 offset1:152
	global_load_dword v46, v104, s[2:3]
	ds_read2st64_b32 v[44:45], v57 offset0:16 offset1:24
	global_load_dword v51, v106, s[2:3]
	global_load_dword v80, v108, s[2:3]
	s_waitcnt lgkmcnt(0)
	v_lshrrev_b32_e32 v49, 16, v45
	global_load_dword v52, v52, s[2:3]
	s_waitcnt vmcnt(13)
	v_mul_f16_sdwa v50, v45, v115 dst_sel:DWORD dst_unused:UNUSED_PAD src0_sel:DWORD src1_sel:WORD_1
	v_fma_f16 v50, v49, v115, v50
	v_mul_f16_sdwa v49, v49, v115 dst_sel:DWORD dst_unused:UNUSED_PAD src0_sel:DWORD src1_sel:WORD_1
	v_lshrrev_b32_e32 v83, 16, v44
	v_fma_f16 v49, v45, v115, -v49
	s_waitcnt vmcnt(12)
	v_mul_f16_sdwa v45, v83, v116 dst_sel:DWORD dst_unused:UNUSED_PAD src0_sel:DWORD src1_sel:WORD_1
	v_fma_f16 v87, v44, v116, -v45
	v_mul_f16_sdwa v88, v44, v116 dst_sel:DWORD dst_unused:UNUSED_PAD src0_sel:DWORD src1_sel:WORD_1
	ds_read2st64_b32 v[44:45], v57 offset0:32 offset1:40
	v_fma_f16 v83, v83, v116, v88
	v_pack_b32_f16 v49, v49, v50
	v_pack_b32_f16 v50, v87, v83
	ds_write2st64_b32 v57, v50, v49 offset0:16 offset1:24
	s_waitcnt lgkmcnt(1)
	v_lshrrev_b32_e32 v49, 16, v44
	s_waitcnt vmcnt(8)
	v_mul_f16_sdwa v50, v44, v79 dst_sel:DWORD dst_unused:UNUSED_PAD src0_sel:DWORD src1_sel:WORD_1
	v_fma_f16 v50, v49, v79, v50
	v_mul_f16_sdwa v49, v49, v79 dst_sel:DWORD dst_unused:UNUSED_PAD src0_sel:DWORD src1_sel:WORD_1
	v_fma_f16 v49, v44, v79, -v49
	v_lshrrev_b32_e32 v79, 16, v45
	s_waitcnt vmcnt(7)
	v_mul_f16_sdwa v44, v79, v82 dst_sel:DWORD dst_unused:UNUSED_PAD src0_sel:DWORD src1_sel:WORD_1
	v_fma_f16 v83, v45, v82, -v44
	v_mul_f16_sdwa v87, v45, v82 dst_sel:DWORD dst_unused:UNUSED_PAD src0_sel:DWORD src1_sel:WORD_1
	ds_read2st64_b32 v[44:45], v57 offset0:64 offset1:72
	v_fma_f16 v79, v79, v82, v87
	v_pack_b32_f16 v49, v49, v50
	v_pack_b32_f16 v50, v83, v79
	ds_write2st64_b32 v57, v49, v50 offset0:32 offset1:40
	s_waitcnt lgkmcnt(1)
	v_lshrrev_b32_e32 v49, 16, v45
	v_mul_f16_sdwa v50, v45, v114 dst_sel:DWORD dst_unused:UNUSED_PAD src0_sel:DWORD src1_sel:WORD_1
	v_fma_f16 v50, v49, v114, v50
	v_mul_f16_sdwa v49, v49, v114 dst_sel:DWORD dst_unused:UNUSED_PAD src0_sel:DWORD src1_sel:WORD_1
	v_lshrrev_b32_e32 v79, 16, v44
	v_fma_f16 v49, v45, v114, -v49
	s_waitcnt vmcnt(6)
	v_mul_f16_sdwa v45, v79, v54 dst_sel:DWORD dst_unused:UNUSED_PAD src0_sel:DWORD src1_sel:WORD_1
	v_fma_f16 v82, v44, v54, -v45
	v_mul_f16_sdwa v83, v44, v54 dst_sel:DWORD dst_unused:UNUSED_PAD src0_sel:DWORD src1_sel:WORD_1
	ds_read2st64_b32 v[44:45], v57 offset0:80 offset1:88
	v_fma_f16 v54, v79, v54, v83
	v_pack_b32_f16 v49, v49, v50
	v_pack_b32_f16 v50, v82, v54
	ds_write2st64_b32 v57, v50, v49 offset0:64 offset1:72
	s_waitcnt lgkmcnt(1)
	v_lshrrev_b32_e32 v49, 16, v44
	v_mul_f16_sdwa v50, v44, v78 dst_sel:DWORD dst_unused:UNUSED_PAD src0_sel:DWORD src1_sel:WORD_1
	v_fma_f16 v50, v49, v78, v50
	v_mul_f16_sdwa v49, v49, v78 dst_sel:DWORD dst_unused:UNUSED_PAD src0_sel:DWORD src1_sel:WORD_1
	v_lshrrev_b32_e32 v54, 16, v45
	v_fma_f16 v49, v44, v78, -v49
	;; [unrolled: 16-line block ×4, first 2 shown]
	s_waitcnt vmcnt(3)
	v_mul_f16_sdwa v44, v49, v46 dst_sel:DWORD dst_unused:UNUSED_PAD src0_sel:DWORD src1_sel:WORD_1
	v_fma_f16 v50, v45, v46, -v44
	v_mul_f16_sdwa v54, v45, v46 dst_sel:DWORD dst_unused:UNUSED_PAD src0_sel:DWORD src1_sel:WORD_1
	ds_read2st64_b32 v[44:45], v57 offset0:160 offset1:168
	v_fma_f16 v46, v49, v46, v54
	v_pack_b32_f16 v47, v47, v48
	v_pack_b32_f16 v46, v50, v46
	ds_write2st64_b32 v57, v47, v46 offset0:128 offset1:136
	s_waitcnt lgkmcnt(1)
	v_lshrrev_b32_e32 v46, 16, v45
	s_waitcnt vmcnt(0)
	v_mul_f16_sdwa v47, v45, v52 dst_sel:DWORD dst_unused:UNUSED_PAD src0_sel:DWORD src1_sel:WORD_1
	v_fma_f16 v47, v46, v52, v47
	v_mul_f16_sdwa v46, v46, v52 dst_sel:DWORD dst_unused:UNUSED_PAD src0_sel:DWORD src1_sel:WORD_1
	v_lshrrev_b32_e32 v48, 16, v44
	v_fma_f16 v46, v45, v52, -v46
	v_mul_f16_sdwa v45, v48, v51 dst_sel:DWORD dst_unused:UNUSED_PAD src0_sel:DWORD src1_sel:WORD_1
	v_fma_f16 v49, v44, v51, -v45
	v_mul_f16_sdwa v50, v44, v51 dst_sel:DWORD dst_unused:UNUSED_PAD src0_sel:DWORD src1_sel:WORD_1
	ds_read2st64_b32 v[44:45], v57 offset0:176 offset1:184
	v_fma_f16 v48, v48, v51, v50
	v_pack_b32_f16 v46, v46, v47
	v_pack_b32_f16 v47, v49, v48
	ds_write2st64_b32 v57, v47, v46 offset0:160 offset1:168
	s_waitcnt lgkmcnt(1)
	v_lshrrev_b32_e32 v46, 16, v44
	v_mul_f16_sdwa v47, v44, v53 dst_sel:DWORD dst_unused:UNUSED_PAD src0_sel:DWORD src1_sel:WORD_1
	v_fma_f16 v47, v46, v53, v47
	v_mul_f16_sdwa v46, v46, v53 dst_sel:DWORD dst_unused:UNUSED_PAD src0_sel:DWORD src1_sel:WORD_1
	v_fma_f16 v44, v44, v53, -v46
	v_lshrrev_b32_e32 v46, 16, v45
	v_mul_f16_sdwa v48, v46, v80 dst_sel:DWORD dst_unused:UNUSED_PAD src0_sel:DWORD src1_sel:WORD_1
	v_fma_f16 v48, v45, v80, -v48
	v_mul_f16_sdwa v45, v45, v80 dst_sel:DWORD dst_unused:UNUSED_PAD src0_sel:DWORD src1_sel:WORD_1
	v_fma_f16 v45, v46, v80, v45
	v_pack_b32_f16 v44, v44, v47
	v_pack_b32_f16 v45, v48, v45
	ds_write2st64_b32 v57, v44, v45 offset0:176 offset1:184
	s_waitcnt lgkmcnt(0)
	s_barrier
	ds_read2st64_b32 v[44:45], v57 offset1:8
	ds_read2st64_b32 v[52:53], v57 offset0:96 offset1:104
	ds_read2st64_b32 v[78:79], v57 offset0:48 offset1:56
	;; [unrolled: 1-line block ×3, first 2 shown]
	s_mov_b32 s2, 0x55555555
	s_waitcnt lgkmcnt(3)
	v_lshrrev_b32_e32 v46, 16, v45
	s_waitcnt lgkmcnt(2)
	v_sub_f16_sdwa v80, v46, v53 dst_sel:DWORD dst_unused:UNUSED_PAD src0_sel:DWORD src1_sel:WORD_1
	s_waitcnt lgkmcnt(1)
	v_lshrrev_b32_e32 v50, 16, v79
	s_waitcnt lgkmcnt(0)
	v_sub_f16_sdwa v88, v50, v83 dst_sel:DWORD dst_unused:UNUSED_PAD src0_sel:DWORD src1_sel:WORD_1
	v_fma_f16 v87, v46, 2.0, -v80
	ds_read2st64_b32 v[46:47], v57 offset0:32 offset1:40
	ds_read2st64_b32 v[48:49], v57 offset0:128 offset1:136
	v_fma_f16 v92, v50, 2.0, -v88
	ds_read2st64_b32 v[50:51], v57 offset0:80 offset1:88
	ds_read2st64_b32 v[54:55], v57 offset0:176 offset1:184
	v_sub_f16_e32 v53, v45, v53
	s_waitcnt lgkmcnt(3)
	v_lshrrev_b32_e32 v98, 16, v46
	s_waitcnt lgkmcnt(2)
	v_sub_f16_sdwa v99, v98, v48 dst_sel:DWORD dst_unused:UNUSED_PAD src0_sel:DWORD src1_sel:WORD_1
	s_waitcnt lgkmcnt(1)
	v_lshrrev_b32_e32 v100, 16, v50
	s_waitcnt lgkmcnt(0)
	v_sub_f16_sdwa v102, v100, v54 dst_sel:DWORD dst_unused:UNUSED_PAD src0_sel:DWORD src1_sel:WORD_1
	v_sub_f16_e32 v48, v46, v48
	v_fma_f16 v100, v100, 2.0, -v102
	v_add_f16_e32 v88, v53, v88
	v_sub_f16_e32 v83, v79, v83
	v_add_f16_e32 v102, v48, v102
	v_sub_f16_e32 v54, v50, v54
	v_sub_f16_e32 v104, v80, v83
	v_sub_f16_e32 v103, v99, v54
	v_fma_f16 v108, v53, 2.0, -v88
	v_fma_f16 v106, v48, 2.0, -v102
	;; [unrolled: 1-line block ×5, first 2 shown]
	v_fma_f16 v107, v106, s9, v108
	v_fma_f16 v116, v99, s12, v107
	;; [unrolled: 1-line block ×7, first 2 shown]
	v_fma_f16 v45, v45, 2.0, -v53
	v_fma_f16 v53, v79, 2.0, -v83
	;; [unrolled: 1-line block ×4, first 2 shown]
	v_sub_f16_e32 v79, v98, v100
	v_fma_f16 v119, v102, s9, v99
	v_sub_f16_e32 v50, v45, v53
	v_sub_f16_e32 v53, v87, v92
	;; [unrolled: 1-line block ×3, first 2 shown]
	v_fma_f16 v83, v98, 2.0, -v79
	ds_read2st64_b32 v[98:99], v57 offset0:16 offset1:24
	ds_read2st64_b32 v[102:103], v57 offset0:64 offset1:72
	;; [unrolled: 1-line block ×4, first 2 shown]
	v_fma_f16 v45, v45, 2.0, -v50
	v_fma_f16 v54, v87, 2.0, -v53
	;; [unrolled: 1-line block ×3, first 2 shown]
	v_sub_f16_e32 v46, v45, v46
	v_sub_f16_e32 v83, v54, v83
	v_add_f16_e32 v79, v50, v79
	v_sub_f16_e32 v48, v53, v48
	v_pack_b32_f16 v113, v118, v119
	v_pack_b32_f16 v112, v79, v48
	;; [unrolled: 1-line block ×4, first 2 shown]
	s_waitcnt lgkmcnt(0)
	s_barrier
	ds_write_b128 v97, v[110:113] offset:16
	v_lshrrev_b32_e32 v97, 16, v78
	v_lshrrev_b32_e32 v110, 16, v99
	;; [unrolled: 1-line block ×4, first 2 shown]
	v_sub_f16_e32 v92, v44, v52
	v_sub_f16_e32 v100, v78, v82
	v_sub_f16_sdwa v82, v97, v82 dst_sel:DWORD dst_unused:UNUSED_PAD src0_sel:DWORD src1_sel:WORD_1
	v_sub_f16_sdwa v111, v110, v107 dst_sel:DWORD dst_unused:UNUSED_PAD src0_sel:DWORD src1_sel:WORD_1
	;; [unrolled: 1-line block ×3, first 2 shown]
	v_sub_f16_e32 v107, v99, v107
	v_sub_f16_sdwa v52, v87, v52 dst_sel:DWORD dst_unused:UNUSED_PAD src0_sel:DWORD src1_sel:WORD_1
	v_fma_f16 v97, v97, 2.0, -v82
	v_fma_f16 v110, v110, 2.0, -v111
	;; [unrolled: 1-line block ×3, first 2 shown]
	v_add_f16_e32 v82, v92, v82
	v_sub_f16_e32 v115, v103, v115
	v_add_f16_e32 v121, v107, v113
	v_fma_f16 v78, v78, 2.0, -v100
	v_sub_f16_e32 v100, v52, v100
	v_fma_f16 v103, v103, 2.0, -v115
	v_sub_f16_e32 v120, v110, v112
	v_sub_f16_e32 v115, v111, v115
	v_fma_f16 v112, v121, s12, v82
	v_fma_f16 v122, v115, s12, v112
	;; [unrolled: 1-line block ×3, first 2 shown]
	v_fma_f16 v44, v44, 2.0, -v92
	v_fma_f16 v123, v121, s9, v112
	v_fma_f16 v113, v82, 2.0, -v122
	v_fma_f16 v82, v92, 2.0, -v82
	;; [unrolled: 1-line block ×8, first 2 shown]
	v_fma_f16 v107, v92, s9, v82
	v_fma_f16 v107, v100, s12, v107
	;; [unrolled: 1-line block ×3, first 2 shown]
	v_sub_f16_e32 v78, v44, v78
	v_fma_f16 v92, v92, s9, v100
	v_sub_f16_e32 v97, v87, v97
	v_sub_f16_e32 v103, v99, v103
	v_add_f16_e32 v124, v78, v120
	v_fma_f16 v82, v82, 2.0, -v107
	v_fma_f16 v52, v52, 2.0, -v92
	;; [unrolled: 1-line block ×3, first 2 shown]
	v_pack_b32_f16 v111, v82, v52
	v_fma_f16 v44, v44, 2.0, -v78
	v_fma_f16 v52, v87, 2.0, -v97
	;; [unrolled: 1-line block ×4, first 2 shown]
	v_sub_f16_e32 v125, v97, v103
	v_sub_f16_e32 v78, v44, v78
	;; [unrolled: 1-line block ×3, first 2 shown]
	v_fma_f16 v126, v97, 2.0, -v125
	v_fma_f16 v44, v44, 2.0, -v78
	;; [unrolled: 1-line block ×3, first 2 shown]
	v_pack_b32_f16 v113, v113, v127
	v_pack_b32_f16 v112, v112, v126
	;; [unrolled: 1-line block ×3, first 2 shown]
	ds_write_b128 v77, v[110:113]
	v_pack_b32_f16 v113, v122, v123
	v_pack_b32_f16 v112, v124, v125
	;; [unrolled: 1-line block ×4, first 2 shown]
	v_fma_f16 v44, v50, 2.0, -v79
	v_fma_f16 v48, v53, 2.0, -v48
	ds_write_b128 v77, v[110:113] offset:16
	v_pack_b32_f16 v112, v44, v48
	v_fma_f16 v44, v108, 2.0, -v116
	v_fma_f16 v48, v80, 2.0, -v117
	v_pack_b32_f16 v111, v44, v48
	v_fma_f16 v44, v45, 2.0, -v46
	v_fma_f16 v45, v54, 2.0, -v83
	v_sub_f16_e32 v79, v47, v49
	v_pack_b32_f16 v110, v44, v45
	v_lshrrev_b32_e32 v44, 16, v98
	v_lshrrev_b32_e32 v46, 16, v102
	;; [unrolled: 1-line block ×3, first 2 shown]
	v_fma_f16 v80, v47, 2.0, -v79
	v_lshrrev_b32_e32 v47, 16, v51
	v_fma_f16 v50, v88, 2.0, -v118
	v_fma_f16 v52, v104, 2.0, -v119
	v_sub_f16_e32 v45, v98, v106
	v_sub_f16_sdwa v48, v44, v106 dst_sel:DWORD dst_unused:UNUSED_PAD src0_sel:DWORD src1_sel:WORD_1
	v_sub_f16_sdwa v53, v46, v114 dst_sel:DWORD dst_unused:UNUSED_PAD src0_sel:DWORD src1_sel:WORD_1
	v_sub_f16_e32 v82, v51, v55
	v_sub_f16_sdwa v55, v47, v55 dst_sel:DWORD dst_unused:UNUSED_PAD src0_sel:DWORD src1_sel:WORD_1
	v_pack_b32_f16 v113, v50, v52
	v_sub_f16_e32 v52, v102, v114
	v_sub_f16_sdwa v49, v78, v49 dst_sel:DWORD dst_unused:UNUSED_PAD src0_sel:DWORD src1_sel:WORD_1
	v_fma_f16 v44, v44, 2.0, -v48
	v_fma_f16 v46, v46, 2.0, -v53
	;; [unrolled: 1-line block ×3, first 2 shown]
	v_add_f16_e32 v53, v45, v53
	v_add_f16_e32 v55, v79, v55
	v_fma_f16 v54, v102, 2.0, -v52
	v_fma_f16 v51, v51, 2.0, -v82
	v_sub_f16_e32 v83, v44, v46
	v_sub_f16_e32 v52, v48, v52
	;; [unrolled: 1-line block ×3, first 2 shown]
	v_fma_f16 v46, v55, s12, v53
	v_fma_f16 v88, v82, s12, v46
	;; [unrolled: 1-line block ×4, first 2 shown]
	v_fma_f16 v50, v98, 2.0, -v45
	v_fma_f16 v78, v78, 2.0, -v49
	v_fma_f16 v100, v52, 2.0, -v92
	v_fma_f16 v45, v45, 2.0, -v53
	v_fma_f16 v48, v48, 2.0, -v52
	v_fma_f16 v52, v79, 2.0, -v55
	v_sub_f16_e32 v87, v78, v47
	v_fma_f16 v47, v53, 2.0, -v88
	v_fma_f16 v49, v49, 2.0, -v82
	v_fma_f16 v53, v52, s9, v45
	v_fma_f16 v53, v49, s12, v53
	;; [unrolled: 1-line block ×4, first 2 shown]
	v_sub_f16_e32 v54, v50, v54
	v_sub_f16_e32 v51, v80, v51
	v_fma_f16 v45, v45, 2.0, -v53
	v_fma_f16 v48, v48, 2.0, -v49
	v_sub_f16_e32 v98, v83, v51
	v_pack_b32_f16 v45, v45, v48
	v_fma_f16 v48, v50, 2.0, -v54
	v_fma_f16 v44, v44, 2.0, -v83
	;; [unrolled: 1-line block ×4, first 2 shown]
	v_add_f16_e32 v97, v54, v87
	v_sub_f16_e32 v50, v48, v50
	v_sub_f16_e32 v51, v44, v51
	v_fma_f16 v46, v54, 2.0, -v97
	v_fma_f16 v99, v83, 2.0, -v98
	v_fma_f16 v48, v48, 2.0, -v50
	v_fma_f16 v44, v44, 2.0, -v51
	v_pack_b32_f16 v47, v47, v100
	v_pack_b32_f16 v46, v46, v99
	;; [unrolled: 1-line block ×3, first 2 shown]
	ds_write_b128 v77, v[44:47] offset:32768
	v_pack_b32_f16 v47, v88, v92
	v_pack_b32_f16 v46, v97, v98
	;; [unrolled: 1-line block ×4, first 2 shown]
	ds_write_b128 v77, v[110:113] offset:16384
	ds_write_b128 v86, v[44:47] offset:16
	s_waitcnt lgkmcnt(0)
	s_barrier
	ds_read2st64_b32 v[44:45], v57 offset0:48 offset1:56
	s_mov_b32 s3, 0x3f155555
	s_waitcnt lgkmcnt(0)
	v_lshrrev_b32_e32 v46, 16, v44
	v_mul_f16_sdwa v47, v3, v44 dst_sel:DWORD dst_unused:UNUSED_PAD src0_sel:WORD_1 src1_sel:DWORD
	v_fma_f16 v50, v3, v46, -v47
	v_mul_f16_sdwa v46, v3, v46 dst_sel:DWORD dst_unused:UNUSED_PAD src0_sel:WORD_1 src1_sel:DWORD
	v_fma_f16 v51, v3, v44, v46
	ds_read2st64_b32 v[46:47], v57 offset0:96 offset1:104
	v_lshrrev_b32_e32 v44, 16, v45
	v_mul_f16_sdwa v48, v3, v44 dst_sel:DWORD dst_unused:UNUSED_PAD src0_sel:WORD_1 src1_sel:DWORD
	v_fma_f16 v52, v3, v45, v48
	v_mul_f16_sdwa v45, v3, v45 dst_sel:DWORD dst_unused:UNUSED_PAD src0_sel:WORD_1 src1_sel:DWORD
	v_fma_f16 v53, v3, v44, -v45
	s_waitcnt lgkmcnt(0)
	v_lshrrev_b32_e32 v44, 16, v46
	v_mul_f16_sdwa v45, v5, v46 dst_sel:DWORD dst_unused:UNUSED_PAD src0_sel:WORD_1 src1_sel:DWORD
	v_fma_f16 v54, v5, v44, -v45
	v_mul_f16_sdwa v44, v5, v44 dst_sel:DWORD dst_unused:UNUSED_PAD src0_sel:WORD_1 src1_sel:DWORD
	v_fma_f16 v55, v5, v46, v44
	ds_read2st64_b32 v[44:45], v57 offset0:32 offset1:40
	v_lshrrev_b32_e32 v46, 16, v47
	v_mul_f16_sdwa v48, v5, v46 dst_sel:DWORD dst_unused:UNUSED_PAD src0_sel:WORD_1 src1_sel:DWORD
	v_fma_f16 v77, v5, v47, v48
	v_mul_f16_sdwa v47, v5, v47 dst_sel:DWORD dst_unused:UNUSED_PAD src0_sel:WORD_1 src1_sel:DWORD
	v_fma_f16 v78, v5, v46, -v47
	s_waitcnt lgkmcnt(0)
	v_lshrrev_b32_e32 v46, 16, v44
	v_mul_f16_sdwa v47, v2, v44 dst_sel:DWORD dst_unused:UNUSED_PAD src0_sel:WORD_1 src1_sel:DWORD
	v_fma_f16 v79, v2, v46, -v47
	v_mul_f16_sdwa v46, v2, v46 dst_sel:DWORD dst_unused:UNUSED_PAD src0_sel:WORD_1 src1_sel:DWORD
	v_fma_f16 v80, v2, v44, v46
	ds_read2st64_b32 v[46:47], v57 offset0:64 offset1:72
	v_lshrrev_b32_e32 v44, 16, v45
	v_mul_f16_sdwa v48, v2, v44 dst_sel:DWORD dst_unused:UNUSED_PAD src0_sel:WORD_1 src1_sel:DWORD
	v_fma_f16 v82, v2, v45, v48
	v_mul_f16_sdwa v45, v2, v45 dst_sel:DWORD dst_unused:UNUSED_PAD src0_sel:WORD_1 src1_sel:DWORD
	v_fma_f16 v83, v2, v44, -v45
	s_waitcnt lgkmcnt(0)
	v_lshrrev_b32_e32 v44, 16, v47
	v_mul_f16_sdwa v45, v4, v47 dst_sel:DWORD dst_unused:UNUSED_PAD src0_sel:WORD_1 src1_sel:DWORD
	ds_read2st64_b32 v[48:49], v57 offset0:80 offset1:88
	v_fma_f16 v86, v4, v44, -v45
	v_mul_f16_sdwa v44, v4, v44 dst_sel:DWORD dst_unused:UNUSED_PAD src0_sel:WORD_1 src1_sel:DWORD
	v_fma_f16 v87, v4, v47, v44
	v_lshrrev_b32_e32 v44, 16, v46
	v_mul_f16_sdwa v45, v3, v44 dst_sel:DWORD dst_unused:UNUSED_PAD src0_sel:WORD_1 src1_sel:DWORD
	v_fma_f16 v88, v3, v46, v45
	v_mul_f16_sdwa v45, v3, v46 dst_sel:DWORD dst_unused:UNUSED_PAD src0_sel:WORD_1 src1_sel:DWORD
	v_fma_f16 v92, v3, v44, -v45
	s_waitcnt lgkmcnt(0)
	v_lshrrev_b32_e32 v3, 16, v48
	v_mul_f16_sdwa v44, v4, v48 dst_sel:DWORD dst_unused:UNUSED_PAD src0_sel:WORD_1 src1_sel:DWORD
	v_fma_f16 v97, v4, v3, -v44
	v_mul_f16_sdwa v3, v4, v3 dst_sel:DWORD dst_unused:UNUSED_PAD src0_sel:WORD_1 src1_sel:DWORD
	v_fma_f16 v48, v4, v48, v3
	v_lshrrev_b32_e32 v3, 16, v49
	ds_read2st64_b32 v[44:45], v57 offset0:16 offset1:24
	v_mul_f16_sdwa v46, v4, v3 dst_sel:DWORD dst_unused:UNUSED_PAD src0_sel:WORD_1 src1_sel:DWORD
	v_fma_f16 v98, v4, v49, v46
	v_mul_f16_sdwa v46, v4, v49 dst_sel:DWORD dst_unused:UNUSED_PAD src0_sel:WORD_1 src1_sel:DWORD
	v_fma_f16 v49, v4, v3, -v46
	ds_read2st64_b32 v[46:47], v57 offset0:112 offset1:120
	s_waitcnt lgkmcnt(1)
	v_lshrrev_b32_e32 v3, 16, v45
	v_mul_f16_sdwa v4, v2, v45 dst_sel:DWORD dst_unused:UNUSED_PAD src0_sel:WORD_1 src1_sel:DWORD
	v_fma_f16 v99, v2, v3, -v4
	v_mul_f16_sdwa v3, v2, v3 dst_sel:DWORD dst_unused:UNUSED_PAD src0_sel:WORD_1 src1_sel:DWORD
	v_fma_f16 v45, v2, v45, v3
	s_waitcnt lgkmcnt(0)
	v_lshrrev_b32_e32 v2, 16, v46
	v_mul_f16_sdwa v3, v5, v46 dst_sel:DWORD dst_unused:UNUSED_PAD src0_sel:WORD_1 src1_sel:DWORD
	v_fma_f16 v100, v5, v2, -v3
	v_mul_f16_sdwa v2, v5, v2 dst_sel:DWORD dst_unused:UNUSED_PAD src0_sel:WORD_1 src1_sel:DWORD
	v_fma_f16 v46, v5, v46, v2
	ds_read2st64_b32 v[2:3], v57 offset0:144 offset1:152
	v_lshrrev_b32_e32 v4, 16, v47
	v_mul_f16_sdwa v5, v22, v4 dst_sel:DWORD dst_unused:UNUSED_PAD src0_sel:WORD_1 src1_sel:DWORD
	v_fma_f16 v102, v22, v47, v5
	v_mul_f16_sdwa v5, v22, v47 dst_sel:DWORD dst_unused:UNUSED_PAD src0_sel:WORD_1 src1_sel:DWORD
	v_fma_f16 v47, v22, v4, -v5
	s_waitcnt lgkmcnt(0)
	v_lshrrev_b32_e32 v4, 16, v2
	v_mul_f16_sdwa v5, v23, v2 dst_sel:DWORD dst_unused:UNUSED_PAD src0_sel:WORD_1 src1_sel:DWORD
	v_fma_f16 v103, v23, v4, -v5
	v_mul_f16_sdwa v4, v23, v4 dst_sel:DWORD dst_unused:UNUSED_PAD src0_sel:WORD_1 src1_sel:DWORD
	v_fma_f16 v104, v23, v2, v4
	ds_read2st64_b32 v[4:5], v57 offset0:128 offset1:136
	v_lshrrev_b32_e32 v2, 16, v3
	v_mul_f16_sdwa v106, v23, v2 dst_sel:DWORD dst_unused:UNUSED_PAD src0_sel:WORD_1 src1_sel:DWORD
	v_fma_f16 v106, v23, v3, v106
	v_mul_f16_sdwa v3, v23, v3 dst_sel:DWORD dst_unused:UNUSED_PAD src0_sel:WORD_1 src1_sel:DWORD
	v_fma_f16 v107, v23, v2, -v3
	;; [unrolled: 12-line block ×4, first 2 shown]
	s_waitcnt lgkmcnt(0)
	v_lshrrev_b32_e32 v2, 16, v4
	v_mul_f16_sdwa v3, v24, v4 dst_sel:DWORD dst_unused:UNUSED_PAD src0_sel:WORD_1 src1_sel:DWORD
	v_fma_f16 v115, v24, v2, -v3
	v_mul_f16_sdwa v2, v24, v2 dst_sel:DWORD dst_unused:UNUSED_PAD src0_sel:WORD_1 src1_sel:DWORD
	v_fma_f16 v4, v24, v4, v2
	ds_read2st64_b32 v[2:3], v57 offset1:8
	v_lshrrev_b32_e32 v116, 16, v5
	v_mul_f16_sdwa v117, v24, v116 dst_sel:DWORD dst_unused:UNUSED_PAD src0_sel:WORD_1 src1_sel:DWORD
	v_fma_f16 v117, v24, v5, v117
	v_mul_f16_sdwa v5, v24, v5 dst_sel:DWORD dst_unused:UNUSED_PAD src0_sel:WORD_1 src1_sel:DWORD
	v_fma_f16 v5, v24, v116, -v5
	s_waitcnt lgkmcnt(0)
	v_sub_f16_e32 v24, v2, v55
	v_lshrrev_b32_e32 v55, 16, v2
	v_sub_f16_e32 v54, v55, v54
	v_sub_f16_e32 v103, v50, v103
	v_fma_f16 v55, v55, 2.0, -v54
	v_sub_f16_e32 v104, v51, v104
	v_fma_f16 v50, v50, 2.0, -v103
	v_sub_f16_e32 v102, v45, v102
	v_sub_f16_e32 v47, v99, v47
	;; [unrolled: 1-line block ×4, first 2 shown]
	v_fma_f16 v51, v51, 2.0, -v104
	v_fma_f16 v45, v45, 2.0, -v102
	;; [unrolled: 1-line block ×5, first 2 shown]
	v_add_f16_e32 v103, v24, v103
	v_add_f16_e32 v112, v102, v112
	v_fma_f16 v2, v2, 2.0, -v24
	v_sub_f16_e32 v50, v55, v50
	v_sub_f16_e32 v104, v54, v104
	;; [unrolled: 1-line block ×3, first 2 shown]
	v_fma_f16 v102, v102, 2.0, -v112
	v_fma_f16 v116, v24, 2.0, -v103
	v_sub_f16_e32 v24, v2, v51
	v_fma_f16 v51, v55, 2.0, -v50
	v_sub_f16_e32 v55, v45, v87
	v_sub_f16_e32 v86, v99, v86
	v_fma_f16 v54, v54, 2.0, -v104
	v_fma_f16 v47, v47, 2.0, -v113
	v_fma_f16 v118, v102, s9, v116
	v_fma_f16 v2, v2, 2.0, -v24
	v_fma_f16 v45, v45, 2.0, -v55
	;; [unrolled: 1-line block ×3, first 2 shown]
	v_fma_f16 v118, v47, s12, v118
	v_fma_f16 v47, v47, s9, v54
	v_sub_f16_e32 v45, v2, v45
	v_sub_f16_e32 v87, v51, v87
	v_fma_f16 v47, v102, s9, v47
	v_fma_f16 v2, v2, 2.0, -v45
	v_fma_f16 v51, v51, 2.0, -v87
	v_pack_b32_f16 v2, v2, v51
	v_fma_f16 v51, v116, 2.0, -v118
	v_fma_f16 v54, v54, 2.0, -v47
	v_pack_b32_f16 v51, v51, v54
	s_barrier
	ds_write2_b32 v81, v2, v51 offset1:8
	v_fma_f16 v2, v112, s12, v103
	v_fma_f16 v51, v113, s12, v104
	v_add_f16_e32 v54, v24, v86
	v_sub_f16_e32 v55, v50, v55
	v_fma_f16 v2, v113, s12, v2
	v_fma_f16 v51, v112, s9, v51
	v_fma_f16 v24, v24, 2.0, -v54
	v_fma_f16 v50, v50, 2.0, -v55
	v_pack_b32_f16 v24, v24, v50
	v_fma_f16 v50, v103, 2.0, -v2
	v_fma_f16 v86, v104, 2.0, -v51
	v_pack_b32_f16 v50, v50, v86
	ds_write2_b32 v81, v24, v50 offset0:16 offset1:24
	v_pack_b32_f16 v24, v45, v87
	v_pack_b32_f16 v45, v118, v47
	ds_write2_b32 v81, v24, v45 offset0:32 offset1:40
	v_pack_b32_f16 v24, v54, v55
	v_pack_b32_f16 v2, v2, v51
	ds_write2_b32 v81, v24, v2 offset0:48 offset1:56
	v_lshrrev_b32_e32 v24, 16, v3
	v_sub_f16_e32 v47, v52, v106
	v_sub_f16_e32 v50, v53, v107
	;; [unrolled: 1-line block ×4, first 2 shown]
	v_fma_f16 v51, v52, 2.0, -v47
	v_fma_f16 v52, v53, 2.0, -v50
	v_sub_f16_e32 v53, v80, v110
	v_sub_f16_e32 v54, v79, v108
	;; [unrolled: 1-line block ×3, first 2 shown]
	v_fma_f16 v77, v79, 2.0, -v54
	v_sub_f16_e32 v4, v48, v4
	v_fma_f16 v79, v97, 2.0, -v78
	v_add_f16_e32 v50, v2, v50
	v_add_f16_e32 v78, v53, v78
	v_fma_f16 v3, v3, 2.0, -v2
	v_fma_f16 v55, v80, 2.0, -v53
	;; [unrolled: 1-line block ×3, first 2 shown]
	v_sub_f16_e32 v47, v45, v47
	v_fma_f16 v2, v2, 2.0, -v50
	v_sub_f16_e32 v4, v54, v4
	v_fma_f16 v53, v53, 2.0, -v78
	v_fma_f16 v24, v24, 2.0, -v45
	;; [unrolled: 1-line block ×4, first 2 shown]
	v_fma_f16 v80, v53, s9, v2
	v_fma_f16 v80, v54, s12, v80
	;; [unrolled: 1-line block ×4, first 2 shown]
	v_sub_f16_e32 v51, v3, v51
	v_sub_f16_e32 v52, v24, v52
	;; [unrolled: 1-line block ×4, first 2 shown]
	v_fma_f16 v3, v3, 2.0, -v51
	v_fma_f16 v24, v24, 2.0, -v52
	;; [unrolled: 1-line block ×4, first 2 shown]
	v_sub_f16_e32 v55, v3, v55
	v_sub_f16_e32 v77, v24, v77
	v_fma_f16 v3, v3, 2.0, -v55
	v_fma_f16 v24, v24, 2.0, -v77
	v_pack_b32_f16 v3, v3, v24
	v_fma_f16 v2, v2, 2.0, -v80
	v_fma_f16 v24, v45, 2.0, -v53
	v_pack_b32_f16 v2, v2, v24
	ds_write2_b32 v84, v3, v2 offset1:8
	v_fma_f16 v2, v78, s12, v50
	v_fma_f16 v2, v4, s12, v2
	;; [unrolled: 1-line block ×3, first 2 shown]
	v_add_f16_e32 v4, v51, v54
	v_sub_f16_e32 v24, v52, v48
	v_fma_f16 v3, v78, s9, v3
	v_fma_f16 v45, v51, 2.0, -v4
	v_fma_f16 v48, v52, 2.0, -v24
	v_pack_b32_f16 v45, v45, v48
	v_fma_f16 v48, v50, 2.0, -v2
	v_fma_f16 v47, v47, 2.0, -v3
	v_pack_b32_f16 v47, v48, v47
	ds_write2_b32 v84, v45, v47 offset0:16 offset1:24
	v_pack_b32_f16 v45, v55, v77
	v_pack_b32_f16 v47, v80, v53
	;; [unrolled: 1-line block ×4, first 2 shown]
	ds_write2_b32 v84, v45, v47 offset0:32 offset1:40
	ds_write2_b32 v84, v4, v2 offset0:48 offset1:56
	v_sub_f16_e32 v2, v44, v46
	v_lshrrev_b32_e32 v3, 16, v44
	v_sub_f16_e32 v23, v92, v23
	v_sub_f16_e32 v47, v82, v111
	;; [unrolled: 1-line block ×3, first 2 shown]
	v_fma_f16 v4, v44, 2.0, -v2
	v_sub_f16_e32 v24, v3, v100
	v_sub_f16_e32 v44, v88, v114
	v_fma_f16 v46, v92, 2.0, -v23
	v_sub_f16_e32 v22, v83, v22
	v_sub_f16_e32 v51, v98, v117
	v_fma_f16 v49, v49, 2.0, -v5
	v_add_f16_e32 v23, v2, v23
	v_add_f16_e32 v5, v47, v5
	v_fma_f16 v45, v88, 2.0, -v44
	v_fma_f16 v48, v82, 2.0, -v47
	;; [unrolled: 1-line block ×3, first 2 shown]
	v_sub_f16_e32 v44, v24, v44
	v_fma_f16 v2, v2, 2.0, -v23
	v_sub_f16_e32 v51, v22, v51
	v_fma_f16 v47, v47, 2.0, -v5
	v_fma_f16 v3, v3, 2.0, -v24
	;; [unrolled: 1-line block ×5, first 2 shown]
	v_fma_f16 v53, v47, s9, v2
	v_fma_f16 v53, v22, s12, v53
	;; [unrolled: 1-line block ×4, first 2 shown]
	v_sub_f16_e32 v45, v4, v45
	v_sub_f16_e32 v46, v3, v46
	v_sub_f16_e32 v47, v48, v52
	v_sub_f16_e32 v49, v50, v49
	v_fma_f16 v4, v4, 2.0, -v45
	v_fma_f16 v3, v3, 2.0, -v46
	;; [unrolled: 1-line block ×4, first 2 shown]
	v_sub_f16_e32 v48, v4, v48
	v_sub_f16_e32 v50, v3, v50
	v_fma_f16 v4, v4, 2.0, -v48
	v_fma_f16 v3, v3, 2.0, -v50
	v_pack_b32_f16 v3, v4, v3
	v_fma_f16 v2, v2, 2.0, -v53
	v_fma_f16 v4, v24, 2.0, -v22
	v_pack_b32_f16 v2, v2, v4
	ds_write2_b32 v90, v3, v2 offset1:8
	v_fma_f16 v2, v5, s12, v23
	v_fma_f16 v3, v51, s12, v44
	;; [unrolled: 1-line block ×4, first 2 shown]
	v_add_f16_e32 v4, v45, v49
	v_sub_f16_e32 v5, v46, v47
	v_fma_f16 v24, v45, 2.0, -v4
	v_fma_f16 v45, v46, 2.0, -v5
	;; [unrolled: 1-line block ×4, first 2 shown]
	v_pack_b32_f16 v24, v24, v45
	v_pack_b32_f16 v23, v23, v44
	ds_write2_b32 v90, v24, v23 offset0:16 offset1:24
	v_pack_b32_f16 v23, v48, v50
	v_pack_b32_f16 v22, v53, v22
	;; [unrolled: 1-line block ×4, first 2 shown]
	ds_write2_b32 v90, v23, v22 offset0:32 offset1:40
	ds_write2_b32 v90, v4, v2 offset0:48 offset1:56
	s_waitcnt lgkmcnt(0)
	s_barrier
	ds_read2st64_b32 v[2:3], v57 offset0:48 offset1:56
	s_waitcnt lgkmcnt(0)
	v_lshrrev_b32_e32 v4, 16, v2
	v_mul_f16_sdwa v5, v26, v4 dst_sel:DWORD dst_unused:UNUSED_PAD src0_sel:WORD_1 src1_sel:DWORD
	v_fma_f16 v23, v26, v2, v5
	v_mul_f16_sdwa v2, v26, v2 dst_sel:DWORD dst_unused:UNUSED_PAD src0_sel:WORD_1 src1_sel:DWORD
	v_fma_f16 v24, v26, v4, -v2
	ds_read2st64_b32 v[4:5], v57 offset0:96 offset1:104
	v_lshrrev_b32_e32 v22, 16, v3
	v_mul_f16_sdwa v2, v26, v22 dst_sel:DWORD dst_unused:UNUSED_PAD src0_sel:WORD_1 src1_sel:DWORD
	v_fma_f16 v44, v26, v3, v2
	v_mul_f16_sdwa v2, v26, v3 dst_sel:DWORD dst_unused:UNUSED_PAD src0_sel:WORD_1 src1_sel:DWORD
	v_fma_f16 v45, v26, v22, -v2
	s_waitcnt lgkmcnt(0)
	v_lshrrev_b32_e32 v2, 16, v4
	v_mul_f16_sdwa v3, v27, v4 dst_sel:DWORD dst_unused:UNUSED_PAD src0_sel:WORD_1 src1_sel:DWORD
	v_fma_f16 v22, v27, v2, -v3
	v_mul_f16_sdwa v2, v27, v2 dst_sel:DWORD dst_unused:UNUSED_PAD src0_sel:WORD_1 src1_sel:DWORD
	v_fma_f16 v46, v27, v4, v2
	ds_read2st64_b32 v[2:3], v57 offset0:144 offset1:152
	v_lshrrev_b32_e32 v4, 16, v5
	v_mul_f16_sdwa v47, v27, v4 dst_sel:DWORD dst_unused:UNUSED_PAD src0_sel:WORD_1 src1_sel:DWORD
	v_fma_f16 v47, v27, v5, v47
	v_mul_f16_sdwa v5, v27, v5 dst_sel:DWORD dst_unused:UNUSED_PAD src0_sel:WORD_1 src1_sel:DWORD
	v_fma_f16 v48, v27, v4, -v5
	s_waitcnt lgkmcnt(0)
	v_lshrrev_b32_e32 v4, 16, v2
	v_mul_f16_sdwa v5, v28, v2 dst_sel:DWORD dst_unused:UNUSED_PAD src0_sel:WORD_1 src1_sel:DWORD
	v_fma_f16 v49, v28, v4, -v5
	v_mul_f16_sdwa v4, v28, v4 dst_sel:DWORD dst_unused:UNUSED_PAD src0_sel:WORD_1 src1_sel:DWORD
	v_fma_f16 v50, v28, v2, v4
	;; [unrolled: 12-line block ×8, first 2 shown]
	ds_read2st64_b32 v[4:5], v57 offset1:8
	v_lshrrev_b32_e32 v2, 16, v3
	v_mul_f16_sdwa v102, v28, v2 dst_sel:DWORD dst_unused:UNUSED_PAD src0_sel:WORD_1 src1_sel:DWORD
	v_fma_f16 v102, v28, v3, v102
	v_mul_f16_sdwa v3, v28, v3 dst_sel:DWORD dst_unused:UNUSED_PAD src0_sel:WORD_1 src1_sel:DWORD
	v_fma_f16 v28, v28, v2, -v3
	s_waitcnt lgkmcnt(0)
	v_lshrrev_b32_e32 v3, 16, v4
	v_sub_f16_e32 v2, v4, v46
	v_sub_f16_e32 v22, v3, v22
	;; [unrolled: 1-line block ×4, first 2 shown]
	v_fma_f16 v3, v3, 2.0, -v22
	v_fma_f16 v23, v23, 2.0, -v46
	;; [unrolled: 1-line block ×4, first 2 shown]
	v_sub_f16_e32 v50, v4, v23
	v_sub_f16_e32 v24, v3, v24
	v_fma_f16 v4, v4, 2.0, -v50
	v_fma_f16 v3, v3, 2.0, -v24
	v_add_f16_e32 v49, v2, v49
	v_sub_f16_e32 v46, v22, v46
	v_pack_b32_f16 v4, v4, v3
	v_fma_f16 v2, v2, 2.0, -v49
	v_fma_f16 v3, v22, 2.0, -v46
	v_pack_b32_f16 v103, v2, v3
	ds_read2st64_b32 v[2:3], v57 offset0:16 offset1:24
	ds_read2st64_b32 v[22:23], v57 offset0:32 offset1:40
	s_waitcnt lgkmcnt(0)
	s_barrier
	ds_write2st64_b32 v85, v4, v103 offset1:1
	v_pack_b32_f16 v4, v50, v24
	v_pack_b32_f16 v24, v49, v46
	ds_write2st64_b32 v85, v4, v24 offset0:2 offset1:3
	v_lshrrev_b32_e32 v24, 16, v5
	v_sub_f16_e32 v4, v5, v47
	v_sub_f16_e32 v46, v24, v48
	v_sub_f16_e32 v47, v44, v51
	v_sub_f16_e32 v48, v45, v52
	v_fma_f16 v5, v5, 2.0, -v4
	v_fma_f16 v24, v24, 2.0, -v46
	v_fma_f16 v44, v44, 2.0, -v47
	v_fma_f16 v45, v45, 2.0, -v48
	v_sub_f16_e32 v44, v5, v44
	v_sub_f16_e32 v45, v24, v45
	v_fma_f16 v5, v5, 2.0, -v44
	v_fma_f16 v24, v24, 2.0, -v45
	v_pack_b32_f16 v5, v5, v24
	v_add_f16_e32 v24, v4, v48
	v_sub_f16_e32 v47, v46, v47
	v_fma_f16 v4, v4, 2.0, -v24
	v_fma_f16 v46, v46, 2.0, -v47
	v_pack_b32_f16 v4, v4, v46
	ds_write2st64_b32 v89, v5, v4 offset1:1
	v_pack_b32_f16 v4, v44, v45
	v_pack_b32_f16 v5, v24, v47
	ds_write2st64_b32 v89, v4, v5 offset0:2 offset1:3
	v_lshrrev_b32_e32 v5, 16, v2
	v_sub_f16_e32 v4, v2, v79
	v_sub_f16_e32 v24, v5, v78
	v_sub_f16_e32 v44, v54, v83
	v_sub_f16_e32 v45, v53, v82
	v_fma_f16 v5, v5, 2.0, -v24
	v_fma_f16 v46, v54, 2.0, -v44
	v_fma_f16 v47, v53, 2.0, -v45
	v_fma_f16 v2, v2, 2.0, -v4
	v_sub_f16_e32 v46, v2, v46
	v_sub_f16_e32 v47, v5, v47
	v_fma_f16 v2, v2, 2.0, -v46
	v_fma_f16 v5, v5, 2.0, -v47
	v_pack_b32_f16 v2, v2, v5
	v_add_f16_e32 v5, v4, v45
	v_sub_f16_e32 v44, v24, v44
	v_fma_f16 v4, v4, 2.0, -v5
	v_fma_f16 v24, v24, 2.0, -v44
	v_pack_b32_f16 v4, v4, v24
	;; [unrolled: 23-line block ×3, first 2 shown]
	ds_write2st64_b32 v93, v3, v2 offset1:1
	v_pack_b32_f16 v2, v45, v46
	v_pack_b32_f16 v3, v4, v24
	v_lshrrev_b32_e32 v4, 16, v22
	ds_write2st64_b32 v93, v2, v3 offset0:2 offset1:3
	v_sub_f16_e32 v2, v22, v97
	v_sub_f16_e32 v24, v4, v92
	;; [unrolled: 1-line block ×4, first 2 shown]
	v_fma_f16 v22, v22, 2.0, -v2
	v_fma_f16 v4, v4, 2.0, -v24
	;; [unrolled: 1-line block ×4, first 2 shown]
	v_sub_f16_e32 v46, v22, v46
	v_sub_f16_e32 v47, v4, v47
	v_fma_f16 v22, v22, 2.0, -v46
	v_fma_f16 v4, v4, 2.0, -v47
	v_pack_b32_f16 v4, v22, v4
	v_add_f16_e32 v22, v2, v45
	v_sub_f16_e32 v44, v24, v44
	v_lshrrev_b32_e32 v5, 16, v23
	v_fma_f16 v2, v2, 2.0, -v22
	v_fma_f16 v24, v24, 2.0, -v44
	v_sub_f16_e32 v3, v23, v98
	v_pack_b32_f16 v2, v2, v24
	v_sub_f16_e32 v24, v5, v27
	v_sub_f16_e32 v27, v90, v102
	;; [unrolled: 1-line block ×3, first 2 shown]
	v_fma_f16 v23, v23, 2.0, -v3
	v_fma_f16 v5, v5, 2.0, -v24
	;; [unrolled: 1-line block ×4, first 2 shown]
	v_sub_f16_e32 v45, v23, v45
	v_sub_f16_e32 v26, v5, v26
	v_add_f16_e32 v28, v3, v28
	v_sub_f16_e32 v27, v24, v27
	v_fma_f16 v23, v23, 2.0, -v45
	v_fma_f16 v5, v5, 2.0, -v26
	;; [unrolled: 1-line block ×4, first 2 shown]
	ds_write2st64_b32 v94, v4, v2 offset1:1
	v_pack_b32_f16 v2, v46, v47
	v_pack_b32_f16 v4, v22, v44
	ds_write2st64_b32 v94, v2, v4 offset0:2 offset1:3
	v_pack_b32_f16 v2, v23, v5
	v_pack_b32_f16 v3, v3, v24
	ds_write2st64_b32 v101, v2, v3 offset1:1
	v_pack_b32_f16 v2, v45, v26
	v_pack_b32_f16 v3, v28, v27
	ds_write2st64_b32 v101, v2, v3 offset0:2 offset1:3
	s_waitcnt lgkmcnt(0)
	s_barrier
	ds_read2st64_b32 v[2:3], v57 offset0:32 offset1:40
	ds_read2st64_b32 v[4:5], v57 offset0:64 offset1:72
	;; [unrolled: 1-line block ×4, first 2 shown]
	s_waitcnt lgkmcnt(3)
	v_lshrrev_b32_e32 v24, 16, v2
	v_mul_f16_sdwa v48, v6, v24 dst_sel:DWORD dst_unused:UNUSED_PAD src0_sel:WORD_1 src1_sel:DWORD
	v_lshrrev_b32_e32 v45, 16, v3
	v_fma_f16 v48, v6, v2, v48
	v_mul_f16_sdwa v2, v6, v2 dst_sel:DWORD dst_unused:UNUSED_PAD src0_sel:WORD_1 src1_sel:DWORD
	v_fma_f16 v24, v6, v24, -v2
	v_mul_f16_sdwa v2, v6, v45 dst_sel:DWORD dst_unused:UNUSED_PAD src0_sel:WORD_1 src1_sel:DWORD
	s_waitcnt lgkmcnt(2)
	v_lshrrev_b32_e32 v28, 16, v4
	v_lshrrev_b32_e32 v46, 16, v5
	v_fma_f16 v49, v6, v3, v2
	v_mul_f16_sdwa v2, v6, v3 dst_sel:DWORD dst_unused:UNUSED_PAD src0_sel:WORD_1 src1_sel:DWORD
	v_mul_f16_sdwa v3, v7, v4 dst_sel:DWORD dst_unused:UNUSED_PAD src0_sel:WORD_1 src1_sel:DWORD
	v_fma_f16 v50, v7, v28, -v3
	v_mul_f16_sdwa v3, v7, v28 dst_sel:DWORD dst_unused:UNUSED_PAD src0_sel:WORD_1 src1_sel:DWORD
	v_fma_f16 v45, v6, v45, -v2
	v_mul_f16_sdwa v2, v7, v46 dst_sel:DWORD dst_unused:UNUSED_PAD src0_sel:WORD_1 src1_sel:DWORD
	s_waitcnt lgkmcnt(1)
	v_lshrrev_b32_e32 v44, 16, v22
	v_lshrrev_b32_e32 v47, 16, v23
	v_fma_f16 v28, v7, v4, v3
	v_fma_f16 v51, v7, v5, v2
	v_mul_f16_sdwa v2, v7, v5 dst_sel:DWORD dst_unused:UNUSED_PAD src0_sel:WORD_1 src1_sel:DWORD
	v_mul_f16_sdwa v3, v8, v22 dst_sel:DWORD dst_unused:UNUSED_PAD src0_sel:WORD_1 src1_sel:DWORD
	v_fma_f16 v52, v8, v44, -v3
	v_mul_f16_sdwa v3, v8, v44 dst_sel:DWORD dst_unused:UNUSED_PAD src0_sel:WORD_1 src1_sel:DWORD
	v_fma_f16 v44, v7, v46, -v2
	v_mul_f16_sdwa v2, v8, v47 dst_sel:DWORD dst_unused:UNUSED_PAD src0_sel:WORD_1 src1_sel:DWORD
	v_fma_f16 v46, v8, v23, v2
	v_mul_f16_sdwa v2, v8, v23 dst_sel:DWORD dst_unused:UNUSED_PAD src0_sel:WORD_1 src1_sel:DWORD
	v_fma_f16 v22, v8, v22, v3
	s_waitcnt lgkmcnt(0)
	v_lshrrev_b32_e32 v3, 16, v26
	v_fma_f16 v23, v8, v47, -v2
	v_mul_f16_sdwa v2, v9, v26 dst_sel:DWORD dst_unused:UNUSED_PAD src0_sel:WORD_1 src1_sel:DWORD
	v_fma_f16 v47, v9, v3, -v2
	v_mul_f16_sdwa v2, v9, v3 dst_sel:DWORD dst_unused:UNUSED_PAD src0_sel:WORD_1 src1_sel:DWORD
	v_fma_f16 v26, v9, v26, v2
	ds_read2st64_b32 v[2:3], v57 offset0:48 offset1:56
	v_lshrrev_b32_e32 v4, 16, v27
	v_mul_f16_sdwa v5, v9, v4 dst_sel:DWORD dst_unused:UNUSED_PAD src0_sel:WORD_1 src1_sel:DWORD
	v_fma_f16 v53, v9, v27, v5
	v_mul_f16_sdwa v5, v9, v27 dst_sel:DWORD dst_unused:UNUSED_PAD src0_sel:WORD_1 src1_sel:DWORD
	v_fma_f16 v27, v9, v4, -v5
	s_waitcnt lgkmcnt(0)
	v_lshrrev_b32_e32 v4, 16, v2
	v_mul_f16_sdwa v5, v6, v2 dst_sel:DWORD dst_unused:UNUSED_PAD src0_sel:WORD_1 src1_sel:DWORD
	v_fma_f16 v54, v6, v4, -v5
	v_mul_f16_sdwa v4, v6, v4 dst_sel:DWORD dst_unused:UNUSED_PAD src0_sel:WORD_1 src1_sel:DWORD
	v_fma_f16 v55, v6, v2, v4
	ds_read2st64_b32 v[4:5], v57 offset0:80 offset1:88
	v_lshrrev_b32_e32 v2, 16, v3
	v_mul_f16_sdwa v77, v6, v2 dst_sel:DWORD dst_unused:UNUSED_PAD src0_sel:WORD_1 src1_sel:DWORD
	v_fma_f16 v77, v6, v3, v77
	v_mul_f16_sdwa v3, v6, v3 dst_sel:DWORD dst_unused:UNUSED_PAD src0_sel:WORD_1 src1_sel:DWORD
	v_fma_f16 v78, v6, v2, -v3
	s_waitcnt lgkmcnt(0)
	v_lshrrev_b32_e32 v2, 16, v4
	;; [unrolled: 12-line block ×4, first 2 shown]
	v_mul_f16_sdwa v3, v9, v4 dst_sel:DWORD dst_unused:UNUSED_PAD src0_sel:WORD_1 src1_sel:DWORD
	v_fma_f16 v87, v9, v2, -v3
	v_mul_f16_sdwa v2, v9, v2 dst_sel:DWORD dst_unused:UNUSED_PAD src0_sel:WORD_1 src1_sel:DWORD
	v_fma_f16 v88, v9, v4, v2
	ds_read2st64_b32 v[2:3], v57 offset1:8
	v_lshrrev_b32_e32 v4, 16, v5
	v_mul_f16_sdwa v6, v9, v4 dst_sel:DWORD dst_unused:UNUSED_PAD src0_sel:WORD_1 src1_sel:DWORD
	v_fma_f16 v89, v9, v5, v6
	v_mul_f16_sdwa v5, v9, v5 dst_sel:DWORD dst_unused:UNUSED_PAD src0_sel:WORD_1 src1_sel:DWORD
	v_fma_f16 v90, v9, v4, -v5
	s_waitcnt lgkmcnt(0)
	v_lshrrev_b32_e32 v4, 16, v2
	v_add_f16_e32 v5, v4, v50
	v_add_f16_e32 v91, v5, v47
	;; [unrolled: 1-line block ×3, first 2 shown]
	v_sub_f16_e32 v92, v50, v47
	v_fma_f16 v47, v5, -0.5, v4
	ds_read2st64_b32 v[4:5], v57 offset0:160 offset1:168
	v_add_f16_e32 v6, v2, v28
	v_add_f16_e32 v9, v24, v52
	;; [unrolled: 1-line block ×4, first 2 shown]
	s_waitcnt lgkmcnt(0)
	v_lshrrev_b32_e32 v7, 16, v4
	v_mul_f16_sdwa v8, v76, v4 dst_sel:DWORD dst_unused:UNUSED_PAD src0_sel:WORD_1 src1_sel:DWORD
	v_fma_f16 v8, v76, v7, -v8
	v_mul_f16_sdwa v7, v76, v7 dst_sel:DWORD dst_unused:UNUSED_PAD src0_sel:WORD_1 src1_sel:DWORD
	v_fma_f16 v4, v76, v4, v7
	v_add_f16_e32 v7, v22, v4
	v_sub_f16_e32 v26, v28, v26
	v_add_f16_e32 v28, v9, v8
	v_sub_f16_e32 v93, v52, v8
	v_add_f16_e32 v8, v52, v8
	v_fma_f16 v52, v7, -0.5, v48
	v_add_f16_e32 v7, v48, v22
	v_fma_f16 v24, v8, -0.5, v24
	v_add_f16_e32 v48, v7, v4
	v_sub_f16_e32 v4, v22, v4
	v_fma_f16 v8, v4, s13, v24
	v_fma_f16 v4, v4, s14, v24
	;; [unrolled: 1-line block ×3, first 2 shown]
	v_mul_f16_e32 v9, 0xbaee, v8
	v_mul_f16_e32 v8, 0.5, v8
	v_fma_f16 v2, v6, -0.5, v2
	v_fma_f16 v99, v26, s13, v47
	v_fma_f16 v26, v26, s14, v47
	;; [unrolled: 1-line block ×3, first 2 shown]
	v_mul_f16_e32 v24, 0xbaee, v4
	v_mul_f16_e32 v4, -0.5, v4
	v_fma_f16 v22, v7, 0.5, v9
	v_fma_f16 v94, v7, s13, v8
	v_fma_f16 v98, v92, s14, v2
	;; [unrolled: 1-line block ×3, first 2 shown]
	v_fma_f16 v24, v47, -0.5, v24
	v_fma_f16 v4, v47, s13, v4
	v_add_f16_e32 v7, v50, v48
	v_add_f16_e32 v8, v91, v28
	;; [unrolled: 1-line block ×3, first 2 shown]
	v_sub_f16_e32 v47, v50, v48
	v_add_f16_e32 v48, v2, v24
	v_add_f16_e32 v50, v26, v4
	v_sub_f16_e32 v22, v98, v22
	v_sub_f16_e32 v2, v2, v24
	;; [unrolled: 1-line block ×4, first 2 shown]
	v_pack_b32_f16 v97, v7, v8
	v_add_f16_e32 v7, v99, v94
	v_pack_b32_f16 v22, v22, v24
	v_pack_b32_f16 v2, v2, v4
	;; [unrolled: 1-line block ×3, first 2 shown]
	ds_read2st64_b32 v[6:7], v57 offset0:16 offset1:24
	ds_read2st64_b32 v[8:9], v57 offset0:176 offset1:184
	s_waitcnt lgkmcnt(0)
	s_barrier
	ds_write2st64_b32 v95, v22, v2 offset0:16 offset1:20
	v_lshrrev_b32_e32 v2, 16, v5
	v_sub_f16_e32 v28, v91, v28
	v_mul_f16_sdwa v4, v76, v2 dst_sel:DWORD dst_unused:UNUSED_PAD src0_sel:WORD_1 src1_sel:DWORD
	v_pack_b32_f16 v48, v48, v50
	v_pack_b32_f16 v28, v47, v28
	v_fma_f16 v4, v76, v5, v4
	v_mul_f16_sdwa v5, v76, v5 dst_sel:DWORD dst_unused:UNUSED_PAD src0_sel:WORD_1 src1_sel:DWORD
	v_lshrrev_b32_e32 v22, 16, v3
	ds_write2st64_b32 v95, v48, v28 offset0:8 offset1:12
	v_fma_f16 v2, v76, v2, -v5
	v_add_f16_e32 v24, v22, v44
	v_add_f16_e32 v28, v45, v23
	;; [unrolled: 1-line block ×3, first 2 shown]
	v_sub_f16_e32 v26, v44, v27
	v_add_f16_e32 v27, v44, v27
	v_add_f16_e32 v28, v28, v2
	v_sub_f16_e32 v44, v23, v2
	v_add_f16_e32 v2, v23, v2
	v_fma_f16 v2, v2, -0.5, v45
	v_add_f16_e32 v45, v49, v46
	v_add_f16_e32 v5, v51, v53
	;; [unrolled: 1-line block ×4, first 2 shown]
	v_sub_f16_e32 v4, v46, v4
	v_fma_f16 v5, v5, -0.5, v3
	v_add_f16_e32 v3, v3, v51
	v_fma_f16 v23, v23, -0.5, v49
	v_fma_f16 v47, v4, s13, v2
	v_add_f16_e32 v3, v3, v53
	v_fma_f16 v46, v44, s14, v23
	v_mul_f16_e32 v48, 0xbaee, v47
	v_mul_f16_e32 v47, 0.5, v47
	v_fma_f16 v2, v4, s14, v2
	v_fma_f16 v22, v27, -0.5, v22
	v_sub_f16_e32 v27, v51, v53
	v_fma_f16 v48, v46, 0.5, v48
	v_fma_f16 v46, v46, s13, v47
	v_add_f16_e32 v47, v3, v45
	v_add_f16_e32 v49, v24, v28
	v_fma_f16 v23, v44, s13, v23
	v_mul_f16_e32 v4, 0xbaee, v2
	v_mul_f16_e32 v2, -0.5, v2
	v_pack_b32_f16 v47, v47, v49
	v_fma_f16 v49, v26, s14, v5
	v_fma_f16 v50, v27, s13, v22
	;; [unrolled: 1-line block ×4, first 2 shown]
	v_fma_f16 v4, v23, -0.5, v4
	v_fma_f16 v2, v23, s13, v2
	v_sub_f16_e32 v3, v3, v45
	v_sub_f16_e32 v23, v24, v28
	v_add_f16_e32 v24, v5, v4
	v_add_f16_e32 v26, v22, v2
	v_pack_b32_f16 v24, v24, v26
	v_pack_b32_f16 v3, v3, v23
	ds_write2st64_b32 v95, v97, v100 offset1:4
	ds_write2st64_b32 v105, v24, v3 offset0:8 offset1:12
	v_sub_f16_e32 v3, v49, v48
	v_sub_f16_e32 v4, v5, v4
	;; [unrolled: 1-line block ×4, first 2 shown]
	v_pack_b32_f16 v3, v3, v5
	v_pack_b32_f16 v2, v4, v2
	ds_write2st64_b32 v105, v3, v2 offset0:16 offset1:20
	v_lshrrev_b32_e32 v2, 16, v8
	v_mul_f16_sdwa v3, v76, v8 dst_sel:DWORD dst_unused:UNUSED_PAD src0_sel:WORD_1 src1_sel:DWORD
	v_fma_f16 v3, v76, v2, -v3
	v_mul_f16_sdwa v2, v76, v2 dst_sel:DWORD dst_unused:UNUSED_PAD src0_sel:WORD_1 src1_sel:DWORD
	v_fma_f16 v2, v76, v8, v2
	v_lshrrev_b32_e32 v4, 16, v9
	v_mul_f16_sdwa v8, v76, v9 dst_sel:DWORD dst_unused:UNUSED_PAD src0_sel:WORD_1 src1_sel:DWORD
	v_mul_f16_sdwa v5, v76, v4 dst_sel:DWORD dst_unused:UNUSED_PAD src0_sel:WORD_1 src1_sel:DWORD
	v_fma_f16 v4, v76, v4, -v8
	v_add_f16_e32 v8, v80, v88
	v_fma_f16 v5, v76, v9, v5
	v_fma_f16 v8, v8, -0.5, v6
	v_sub_f16_e32 v9, v79, v87
	v_fma_f16 v22, v9, s14, v8
	v_fma_f16 v8, v9, s13, v8
	v_lshrrev_b32_e32 v9, 16, v6
	v_add_f16_e32 v24, v79, v87
	v_add_f16_e32 v23, v9, v79
	v_fma_f16 v9, v24, -0.5, v9
	v_sub_f16_e32 v24, v80, v88
	v_fma_f16 v26, v24, s13, v9
	v_fma_f16 v9, v24, s14, v9
	v_add_f16_e32 v24, v84, v2
	v_fma_f16 v24, v24, -0.5, v55
	v_sub_f16_e32 v27, v83, v3
	v_fma_f16 v28, v27, s14, v24
	v_fma_f16 v24, v27, s13, v24
	v_add_f16_e32 v27, v54, v83
	v_add_f16_e32 v27, v27, v3
	;; [unrolled: 1-line block ×4, first 2 shown]
	v_fma_f16 v3, v3, -0.5, v54
	v_add_f16_e32 v44, v44, v2
	v_sub_f16_e32 v2, v84, v2
	v_fma_f16 v45, v2, s13, v3
	v_fma_f16 v2, v2, s14, v3
	v_mul_f16_e32 v3, 0xbaee, v45
	v_mul_f16_e32 v45, 0.5, v45
	v_add_f16_e32 v6, v6, v80
	v_fma_f16 v3, v28, 0.5, v3
	v_fma_f16 v28, v28, s13, v45
	v_mul_f16_e32 v45, 0xbaee, v2
	v_mul_f16_e32 v2, -0.5, v2
	v_add_f16_e32 v51, v49, v48
	v_add_f16_e32 v52, v50, v46
	;; [unrolled: 1-line block ×4, first 2 shown]
	v_fma_f16 v45, v24, -0.5, v45
	v_fma_f16 v2, v24, s13, v2
	v_pack_b32_f16 v51, v51, v52
	v_add_f16_e32 v24, v6, v44
	v_sub_f16_e32 v6, v6, v44
	v_add_f16_e32 v44, v22, v3
	v_sub_f16_e32 v3, v22, v3
	;; [unrolled: 2-line block ×6, first 2 shown]
	v_add_f16_e32 v9, v81, v89
	ds_write2st64_b32 v105, v47, v51 offset1:4
	v_fma_f16 v9, v9, -0.5, v7
	v_lshrrev_b32_e32 v46, 16, v7
	v_sub_f16_e32 v47, v82, v90
	v_add_f16_e32 v49, v82, v90
	v_fma_f16 v48, v47, s14, v9
	v_fma_f16 v9, v47, s13, v9
	v_add_f16_e32 v47, v46, v82
	v_fma_f16 v46, v49, -0.5, v46
	v_sub_f16_e32 v49, v81, v89
	v_fma_f16 v50, v49, s13, v46
	v_fma_f16 v46, v49, s14, v46
	v_add_f16_e32 v49, v85, v5
	v_fma_f16 v49, v49, -0.5, v77
	v_sub_f16_e32 v51, v86, v4
	v_fma_f16 v52, v51, s14, v49
	v_fma_f16 v49, v51, s13, v49
	v_add_f16_e32 v51, v78, v86
	v_add_f16_e32 v51, v51, v4
	v_add_f16_e32 v4, v86, v4
	v_add_f16_e32 v53, v77, v85
	v_fma_f16 v4, v4, -0.5, v78
	v_add_f16_e32 v53, v53, v5
	v_sub_f16_e32 v5, v85, v5
	v_fma_f16 v54, v5, s13, v4
	v_fma_f16 v4, v5, s14, v4
	v_mul_f16_e32 v5, 0xbaee, v54
	v_mul_f16_e32 v54, 0.5, v54
	v_add_f16_e32 v7, v7, v81
	v_fma_f16 v5, v52, 0.5, v5
	v_fma_f16 v52, v52, s13, v54
	v_mul_f16_e32 v54, 0xbaee, v4
	v_add_f16_e32 v47, v47, v90
	v_add_f16_e32 v7, v7, v89
	v_fma_f16 v54, v49, -0.5, v54
	v_mul_f16_e32 v4, -0.5, v4
	v_fma_f16 v4, v49, s13, v4
	v_add_f16_e32 v49, v7, v53
	v_sub_f16_e32 v7, v7, v53
	v_add_f16_e32 v53, v48, v5
	v_sub_f16_e32 v5, v48, v5
	v_add_f16_e32 v48, v9, v54
	v_sub_f16_e32 v9, v9, v54
	v_add_f16_e32 v54, v47, v51
	v_sub_f16_e32 v47, v47, v51
	v_add_f16_e32 v51, v50, v52
	v_pack_b32_f16 v3, v3, v26
	v_pack_b32_f16 v2, v8, v2
	v_sub_f16_e32 v50, v50, v52
	v_add_f16_e32 v52, v46, v4
	v_pack_b32_f16 v24, v24, v45
	v_pack_b32_f16 v27, v44, v27
	;; [unrolled: 1-line block ×4, first 2 shown]
	ds_write2st64_b32 v96, v3, v2 offset0:16 offset1:20
	v_pack_b32_f16 v2, v49, v54
	v_pack_b32_f16 v3, v53, v51
	v_sub_f16_e32 v4, v46, v4
	ds_write2st64_b32 v96, v24, v27 offset1:4
	ds_write2st64_b32 v96, v22, v6 offset0:8 offset1:12
	ds_write2st64_b32 v109, v2, v3 offset1:4
	v_pack_b32_f16 v2, v48, v52
	v_pack_b32_f16 v3, v7, v47
	ds_write2st64_b32 v109, v2, v3 offset0:8 offset1:12
	v_pack_b32_f16 v2, v5, v50
	v_pack_b32_f16 v3, v9, v4
	ds_write2st64_b32 v109, v2, v3 offset0:16 offset1:20
	s_waitcnt lgkmcnt(0)
	s_barrier
	ds_read2st64_b32 v[2:3], v57 offset0:16 offset1:24
	ds_read2st64_b32 v[4:5], v57 offset0:48 offset1:56
	;; [unrolled: 1-line block ×5, first 2 shown]
	s_waitcnt lgkmcnt(4)
	v_lshrrev_b32_e32 v24, 16, v3
	v_mul_f16_sdwa v51, v14, v24 dst_sel:DWORD dst_unused:UNUSED_PAD src0_sel:WORD_1 src1_sel:DWORD
	s_waitcnt lgkmcnt(3)
	v_lshrrev_b32_e32 v28, 16, v4
	v_fma_f16 v51, v14, v3, v51
	v_mul_f16_sdwa v3, v14, v3 dst_sel:DWORD dst_unused:UNUSED_PAD src0_sel:WORD_1 src1_sel:DWORD
	v_fma_f16 v3, v14, v24, -v3
	v_mul_f16_sdwa v14, v15, v28 dst_sel:DWORD dst_unused:UNUSED_PAD src0_sel:WORD_1 src1_sel:DWORD
	s_waitcnt lgkmcnt(2)
	v_lshrrev_b32_e32 v48, 16, v7
	v_fma_f16 v14, v15, v4, v14
	v_mul_f16_sdwa v4, v15, v4 dst_sel:DWORD dst_unused:UNUSED_PAD src0_sel:WORD_1 src1_sel:DWORD
	ds_read2st64_b32 v[26:27], v57 offset0:144 offset1:152
	ds_read2st64_b32 v[44:45], v57 offset0:32 offset1:40
	;; [unrolled: 1-line block ×3, first 2 shown]
	v_fma_f16 v15, v15, v28, -v4
	v_mul_f16_sdwa v4, v16, v48 dst_sel:DWORD dst_unused:UNUSED_PAD src0_sel:WORD_1 src1_sel:DWORD
	v_fma_f16 v24, v16, v7, v4
	v_mul_f16_sdwa v4, v16, v7 dst_sel:DWORD dst_unused:UNUSED_PAD src0_sel:WORD_1 src1_sel:DWORD
	v_lshrrev_b32_e32 v7, 16, v5
	s_waitcnt lgkmcnt(4)
	v_lshrrev_b32_e32 v49, 16, v8
	v_fma_f16 v16, v16, v48, -v4
	v_mul_f16_sdwa v4, v17, v8 dst_sel:DWORD dst_unused:UNUSED_PAD src0_sel:WORD_1 src1_sel:DWORD
	v_mul_f16_sdwa v48, v11, v7 dst_sel:DWORD dst_unused:UNUSED_PAD src0_sel:WORD_1 src1_sel:DWORD
	v_fma_f16 v28, v17, v49, -v4
	v_mul_f16_sdwa v4, v17, v49 dst_sel:DWORD dst_unused:UNUSED_PAD src0_sel:WORD_1 src1_sel:DWORD
	v_fma_f16 v48, v11, v5, v48
	v_mul_f16_sdwa v5, v11, v5 dst_sel:DWORD dst_unused:UNUSED_PAD src0_sel:WORD_1 src1_sel:DWORD
	v_fma_f16 v17, v17, v8, v4
	s_waitcnt lgkmcnt(1)
	v_lshrrev_b32_e32 v4, 16, v44
	v_fma_f16 v11, v11, v7, -v5
	v_mul_f16_sdwa v7, v10, v44 dst_sel:DWORD dst_unused:UNUSED_PAD src0_sel:WORD_1 src1_sel:DWORD
	v_fma_f16 v53, v10, v4, -v7
	v_mul_f16_sdwa v4, v10, v4 dst_sel:DWORD dst_unused:UNUSED_PAD src0_sel:WORD_1 src1_sel:DWORD
	s_waitcnt lgkmcnt(0)
	v_lshrrev_b32_e32 v8, 16, v46
	v_lshrrev_b32_e32 v49, 16, v9
	v_fma_f16 v10, v10, v44, v4
	v_mul_f16_sdwa v4, v12, v46 dst_sel:DWORD dst_unused:UNUSED_PAD src0_sel:WORD_1 src1_sel:DWORD
	v_lshrrev_b32_e32 v7, 16, v45
	v_mul_f16_sdwa v5, v13, v49 dst_sel:DWORD dst_unused:UNUSED_PAD src0_sel:WORD_1 src1_sel:DWORD
	v_fma_f16 v44, v12, v8, -v4
	v_mul_f16_sdwa v4, v12, v8 dst_sel:DWORD dst_unused:UNUSED_PAD src0_sel:WORD_1 src1_sel:DWORD
	v_mul_f16_sdwa v8, v18, v7 dst_sel:DWORD dst_unused:UNUSED_PAD src0_sel:WORD_1 src1_sel:DWORD
	v_fma_f16 v52, v13, v9, v5
	v_mul_f16_sdwa v5, v13, v9 dst_sel:DWORD dst_unused:UNUSED_PAD src0_sel:WORD_1 src1_sel:DWORD
	v_fma_f16 v12, v12, v46, v4
	v_fma_f16 v46, v18, v45, v8
	v_mul_f16_sdwa v8, v18, v45 dst_sel:DWORD dst_unused:UNUSED_PAD src0_sel:WORD_1 src1_sel:DWORD
	v_lshrrev_b32_e32 v9, 16, v6
	v_fma_f16 v18, v18, v7, -v8
	v_mul_f16_sdwa v7, v19, v9 dst_sel:DWORD dst_unused:UNUSED_PAD src0_sel:WORD_1 src1_sel:DWORD
	v_fma_f16 v45, v19, v6, v7
	v_mul_f16_sdwa v6, v19, v6 dst_sel:DWORD dst_unused:UNUSED_PAD src0_sel:WORD_1 src1_sel:DWORD
	v_lshrrev_b32_e32 v7, 16, v47
	v_fma_f16 v19, v19, v9, -v6
	v_mul_f16_sdwa v6, v20, v7 dst_sel:DWORD dst_unused:UNUSED_PAD src0_sel:WORD_1 src1_sel:DWORD
	v_fma_f16 v13, v13, v49, -v5
	ds_read2st64_b32 v[4:5], v57 offset0:160 offset1:168
	v_fma_f16 v49, v20, v47, v6
	v_mul_f16_sdwa v6, v20, v47 dst_sel:DWORD dst_unused:UNUSED_PAD src0_sel:WORD_1 src1_sel:DWORD
	v_lshrrev_b32_e32 v50, 16, v23
	v_lshrrev_b32_e32 v8, 16, v22
	v_fma_f16 v20, v20, v7, -v6
	v_mul_f16_sdwa v6, v21, v22 dst_sel:DWORD dst_unused:UNUSED_PAD src0_sel:WORD_1 src1_sel:DWORD
	v_fma_f16 v47, v21, v8, -v6
	v_mul_f16_sdwa v6, v21, v8 dst_sel:DWORD dst_unused:UNUSED_PAD src0_sel:WORD_1 src1_sel:DWORD
	v_mul_f16_sdwa v8, v34, v50 dst_sel:DWORD dst_unused:UNUSED_PAD src0_sel:WORD_1 src1_sel:DWORD
	v_fma_f16 v21, v21, v22, v6
	v_lshrrev_b32_e32 v6, 16, v26
	v_fma_f16 v22, v34, v23, v8
	v_mul_f16_sdwa v8, v34, v23 dst_sel:DWORD dst_unused:UNUSED_PAD src0_sel:WORD_1 src1_sel:DWORD
	v_fma_f16 v23, v34, v50, -v8
	v_mul_f16_sdwa v8, v35, v6 dst_sel:DWORD dst_unused:UNUSED_PAD src0_sel:WORD_1 src1_sel:DWORD
	s_waitcnt lgkmcnt(0)
	v_lshrrev_b32_e32 v7, 16, v5
	v_fma_f16 v34, v35, v26, v8
	v_mul_f16_sdwa v8, v35, v26 dst_sel:DWORD dst_unused:UNUSED_PAD src0_sel:WORD_1 src1_sel:DWORD
	v_fma_f16 v26, v35, v6, -v8
	v_mul_f16_sdwa v6, v36, v7 dst_sel:DWORD dst_unused:UNUSED_PAD src0_sel:WORD_1 src1_sel:DWORD
	v_fma_f16 v35, v36, v5, v6
	v_mul_f16_sdwa v5, v36, v5 dst_sel:DWORD dst_unused:UNUSED_PAD src0_sel:WORD_1 src1_sel:DWORD
	v_fma_f16 v36, v36, v7, -v5
	v_lshrrev_b32_e32 v5, 16, v27
	ds_read2st64_b32 v[6:7], v57 offset0:128 offset1:136
	v_mul_f16_sdwa v8, v31, v5 dst_sel:DWORD dst_unused:UNUSED_PAD src0_sel:WORD_1 src1_sel:DWORD
	v_fma_f16 v50, v31, v27, v8
	v_mul_f16_sdwa v8, v31, v27 dst_sel:DWORD dst_unused:UNUSED_PAD src0_sel:WORD_1 src1_sel:DWORD
	v_fma_f16 v31, v31, v5, -v8
	ds_read2st64_b32 v[8:9], v57 offset0:176 offset1:184
	s_waitcnt lgkmcnt(1)
	v_lshrrev_b32_e32 v27, 16, v6
	v_mul_f16_sdwa v5, v30, v6 dst_sel:DWORD dst_unused:UNUSED_PAD src0_sel:WORD_1 src1_sel:DWORD
	v_fma_f16 v54, v30, v27, -v5
	v_mul_f16_sdwa v5, v30, v27 dst_sel:DWORD dst_unused:UNUSED_PAD src0_sel:WORD_1 src1_sel:DWORD
	v_fma_f16 v6, v30, v6, v5
	s_waitcnt lgkmcnt(0)
	v_lshrrev_b32_e32 v5, 16, v8
	v_mul_f16_sdwa v27, v32, v8 dst_sel:DWORD dst_unused:UNUSED_PAD src0_sel:WORD_1 src1_sel:DWORD
	v_fma_f16 v27, v32, v5, -v27
	v_mul_f16_sdwa v5, v32, v5 dst_sel:DWORD dst_unused:UNUSED_PAD src0_sel:WORD_1 src1_sel:DWORD
	v_fma_f16 v8, v32, v8, v5
	v_lshrrev_b32_e32 v5, 16, v7
	v_mul_f16_sdwa v30, v38, v5 dst_sel:DWORD dst_unused:UNUSED_PAD src0_sel:WORD_1 src1_sel:DWORD
	v_fma_f16 v30, v38, v7, v30
	v_mul_f16_sdwa v7, v38, v7 dst_sel:DWORD dst_unused:UNUSED_PAD src0_sel:WORD_1 src1_sel:DWORD
	v_fma_f16 v7, v38, v5, -v7
	v_lshrrev_b32_e32 v5, 16, v4
	v_mul_f16_sdwa v32, v39, v5 dst_sel:DWORD dst_unused:UNUSED_PAD src0_sel:WORD_1 src1_sel:DWORD
	v_fma_f16 v32, v39, v4, v32
	v_mul_f16_sdwa v4, v39, v4 dst_sel:DWORD dst_unused:UNUSED_PAD src0_sel:WORD_1 src1_sel:DWORD
	v_fma_f16 v38, v39, v5, -v4
	ds_read2st64_b32 v[4:5], v57 offset1:8
	v_lshrrev_b32_e32 v39, 16, v9
	v_mul_f16_sdwa v55, v40, v39 dst_sel:DWORD dst_unused:UNUSED_PAD src0_sel:WORD_1 src1_sel:DWORD
	v_fma_f16 v55, v40, v9, v55
	v_mul_f16_sdwa v9, v40, v9 dst_sel:DWORD dst_unused:UNUSED_PAD src0_sel:WORD_1 src1_sel:DWORD
	v_fma_f16 v9, v40, v39, -v9
	s_waitcnt lgkmcnt(0)
	v_sub_f16_e32 v17, v4, v17
	v_lshrrev_b32_e32 v39, 16, v4
	v_sub_f16_e32 v26, v15, v26
	v_sub_f16_e32 v22, v51, v22
	;; [unrolled: 1-line block ×5, first 2 shown]
	v_fma_f16 v15, v15, 2.0, -v26
	v_sub_f16_e32 v23, v3, v23
	v_sub_f16_e32 v35, v24, v35
	v_fma_f16 v16, v16, 2.0, -v36
	v_add_f16_e32 v26, v17, v26
	v_add_f16_e32 v36, v22, v36
	v_fma_f16 v14, v14, 2.0, -v34
	v_fma_f16 v40, v51, 2.0, -v22
	;; [unrolled: 1-line block ×3, first 2 shown]
	v_sub_f16_e32 v34, v28, v34
	v_sub_f16_e32 v35, v23, v35
	v_fma_f16 v22, v22, 2.0, -v36
	v_fma_f16 v51, v17, 2.0, -v26
	;; [unrolled: 1-line block ×6, first 2 shown]
	v_fma_f16 v76, v22, s9, v51
	v_fma_f16 v76, v23, s12, v76
	;; [unrolled: 1-line block ×8, first 2 shown]
	v_fma_f16 v4, v4, 2.0, -v17
	v_sub_f16_e32 v17, v5, v52
	v_lshrrev_b32_e32 v36, 16, v5
	v_sub_f16_e32 v31, v11, v31
	v_sub_f16_e32 v6, v10, v6
	;; [unrolled: 1-line block ×5, first 2 shown]
	v_fma_f16 v11, v11, 2.0, -v31
	v_sub_f16_e32 v52, v53, v54
	v_sub_f16_e32 v8, v12, v8
	v_fma_f16 v44, v44, 2.0, -v27
	v_add_f16_e32 v31, v17, v31
	v_add_f16_e32 v27, v6, v27
	v_fma_f16 v5, v5, 2.0, -v17
	v_fma_f16 v48, v48, 2.0, -v50
	;; [unrolled: 1-line block ×4, first 2 shown]
	v_sub_f16_e32 v50, v13, v50
	v_fma_f16 v17, v17, 2.0, -v31
	v_sub_f16_e32 v8, v52, v8
	v_fma_f16 v6, v6, 2.0, -v27
	v_fma_f16 v36, v36, 2.0, -v13
	;; [unrolled: 1-line block ×5, first 2 shown]
	v_fma_f16 v54, v6, s9, v17
	v_fma_f16 v54, v52, s12, v54
	;; [unrolled: 1-line block ×8, first 2 shown]
	v_sub_f16_e32 v21, v2, v21
	v_lshrrev_b32_e32 v27, 16, v2
	v_fma_f16 v77, v2, 2.0, -v21
	v_sub_f16_e32 v2, v27, v47
	v_sub_f16_e32 v32, v45, v32
	;; [unrolled: 1-line block ×3, first 2 shown]
	v_fma_f16 v45, v45, 2.0, -v32
	v_sub_f16_e32 v30, v46, v30
	v_sub_f16_e32 v9, v20, v9
	;; [unrolled: 1-line block ×3, first 2 shown]
	v_fma_f16 v27, v27, 2.0, -v2
	v_fma_f16 v19, v19, 2.0, -v38
	v_sub_f16_e32 v7, v18, v7
	v_sub_f16_e32 v47, v49, v55
	v_add_f16_e32 v38, v21, v38
	v_fma_f16 v55, v2, 2.0, -v32
	v_add_f16_e32 v2, v30, v9
	v_fma_f16 v46, v46, 2.0, -v30
	v_fma_f16 v20, v20, 2.0, -v9
	;; [unrolled: 1-line block ×3, first 2 shown]
	v_sub_f16_e32 v9, v7, v47
	v_fma_f16 v30, v30, 2.0, -v2
	v_fma_f16 v18, v18, 2.0, -v7
	;; [unrolled: 1-line block ×4, first 2 shown]
	v_fma_f16 v47, v30, s9, v21
	v_fma_f16 v47, v7, s12, v47
	;; [unrolled: 1-line block ×8, first 2 shown]
	v_sub_f16_e32 v2, v4, v14
	v_sub_f16_e32 v14, v39, v15
	;; [unrolled: 1-line block ×4, first 2 shown]
	v_fma_f16 v4, v4, 2.0, -v2
	v_fma_f16 v15, v39, 2.0, -v14
	;; [unrolled: 1-line block ×4, first 2 shown]
	v_sub_f16_e32 v39, v4, v39
	v_sub_f16_e32 v3, v15, v3
	v_fma_f16 v4, v4, 2.0, -v39
	v_fma_f16 v15, v15, 2.0, -v3
	v_pack_b32_f16 v4, v4, v15
	v_fma_f16 v15, v51, 2.0, -v76
	v_fma_f16 v28, v28, 2.0, -v22
	v_pack_b32_f16 v15, v15, v28
	v_fma_f16 v26, v26, 2.0, -v23
	v_fma_f16 v28, v34, 2.0, -v35
	v_sub_f16_e32 v11, v36, v11
	v_pack_b32_f16 v26, v26, v28
	v_sub_f16_e32 v28, v5, v48
	v_fma_f16 v34, v36, 2.0, -v11
	v_sub_f16_e32 v12, v10, v12
	v_sub_f16_e32 v36, v53, v44
	v_fma_f16 v5, v5, 2.0, -v28
	v_fma_f16 v10, v10, 2.0, -v12
	;; [unrolled: 1-line block ×3, first 2 shown]
	v_sub_f16_e32 v45, v77, v45
	v_sub_f16_e32 v19, v27, v19
	;; [unrolled: 1-line block ×6, first 2 shown]
	v_fma_f16 v48, v77, 2.0, -v45
	v_fma_f16 v27, v27, 2.0, -v19
	;; [unrolled: 1-line block ×4, first 2 shown]
	v_add_f16_e32 v16, v2, v16
	v_sub_f16_e32 v24, v14, v24
	v_fma_f16 v5, v5, 2.0, -v10
	v_add_f16_e32 v36, v28, v36
	v_sub_f16_e32 v12, v11, v12
	v_sub_f16_e32 v46, v48, v46
	;; [unrolled: 1-line block ×3, first 2 shown]
	v_pack_b32_f16 v3, v39, v3
	v_pack_b32_f16 v10, v10, v40
	v_fma_f16 v2, v2, 2.0, -v16
	v_fma_f16 v34, v34, 2.0, -v40
	;; [unrolled: 1-line block ×5, first 2 shown]
	v_pack_b32_f16 v16, v16, v24
	ds_write2st64_b32 v57, v3, v10 offset0:96 offset1:104
	v_pack_b32_f16 v3, v54, v6
	v_pack_b32_f16 v6, v36, v12
	v_fma_f16 v17, v17, 2.0, -v54
	v_fma_f16 v44, v50, 2.0, -v8
	;; [unrolled: 1-line block ×4, first 2 shown]
	v_add_f16_e32 v20, v45, v20
	v_sub_f16_e32 v49, v19, v49
	v_pack_b32_f16 v5, v5, v34
	ds_write2st64_b32 v57, v16, v6 offset0:144 offset1:152
	v_pack_b32_f16 v6, v52, v8
	v_pack_b32_f16 v8, v48, v27
	v_fma_f16 v14, v14, 2.0, -v24
	v_fma_f16 v28, v28, 2.0, -v36
	;; [unrolled: 1-line block ×5, first 2 shown]
	ds_write2st64_b32 v57, v4, v5 offset1:8
	v_pack_b32_f16 v4, v17, v13
	ds_write2st64_b32 v57, v8, v15 offset0:16 offset1:24
	v_pack_b32_f16 v8, v21, v50
	v_pack_b32_f16 v14, v2, v14
	v_fma_f16 v31, v31, 2.0, -v52
	v_fma_f16 v38, v38, 2.0, -v30
	;; [unrolled: 1-line block ×3, first 2 shown]
	v_pack_b32_f16 v5, v28, v11
	ds_write2st64_b32 v57, v4, v8 offset0:32 offset1:40
	v_pack_b32_f16 v4, v45, v19
	ds_write2st64_b32 v57, v14, v5 offset0:48 offset1:56
	;; [unrolled: 2-line block ×3, first 2 shown]
	v_pack_b32_f16 v4, v38, v32
	v_pack_b32_f16 v22, v76, v22
	ds_write2st64_b32 v57, v5, v4 offset0:80 offset1:88
	v_pack_b32_f16 v4, v46, v18
	ds_write2st64_b32 v57, v4, v22 offset0:112 offset1:120
	v_pack_b32_f16 v4, v47, v7
	v_pack_b32_f16 v23, v23, v35
	ds_write2st64_b32 v57, v3, v4 offset0:128 offset1:136
	v_pack_b32_f16 v3, v20, v49
	ds_write2st64_b32 v57, v3, v23 offset0:160 offset1:168
	;; [unrolled: 2-line block ×3, first 2 shown]
	s_waitcnt lgkmcnt(0)
	s_barrier
	ds_read2st64_b32 v[8:9], v57 offset1:8
	v_mov_b32_e32 v2, s0
	v_mov_b32_e32 v3, s1
	v_mad_u64_u32 v[4:5], s[0:1], s6, v42, 0
	s_waitcnt lgkmcnt(0)
	v_lshrrev_b32_e32 v10, 16, v8
	v_mov_b32_e32 v6, v5
	v_mul_f16_sdwa v5, v1, v10 dst_sel:DWORD dst_unused:UNUSED_PAD src0_sel:WORD_1 src1_sel:DWORD
	v_fma_f16 v5, v1, v8, v5
	v_cvt_f32_f16_e32 v11, v5
	v_mad_u64_u32 v[6:7], s[0:1], s7, v42, v[6:7]
	v_mov_b32_e32 v5, v6
	v_cvt_f64_f32_e32 v[6:7], v11
	v_mul_f64 v[6:7], v[6:7], s[2:3]
	s_movk_i32 s6, 0x1ff
	v_and_or_b32 v6, v7, s6, v6
	v_cmp_ne_u32_e32 vcc, 0, v6
	v_lshrrev_b32_e32 v11, 8, v7
	s_movk_i32 s7, 0xffe
	v_cndmask_b32_e64 v6, 0, 1, vcc
	v_bfe_u32 v12, v7, 20, 11
	v_and_or_b32 v6, v11, s7, v6
	v_sub_u32_e32 v13, 0x3f1, v12
	v_or_b32_e32 v11, 0x1000, v6
	v_med3_i32 v13, v13, 0, 13
	v_lshrrev_b32_e32 v14, v13, v11
	v_lshlrev_b32_e32 v13, v13, v14
	v_cmp_ne_u32_e32 vcc, v13, v11
	v_add_u32_e32 v12, 0xfffffc10, v12
	v_lshl_or_b32 v13, v12, 12, v6
	v_cndmask_b32_e64 v11, 0, 1, vcc
	v_or_b32_e32 v11, v14, v11
	v_cmp_gt_i32_e32 vcc, 1, v12
	v_mul_f16_sdwa v8, v1, v8 dst_sel:DWORD dst_unused:UNUSED_PAD src0_sel:WORD_1 src1_sel:DWORD
	v_fma_f16 v1, v1, v10, -v8
	v_cndmask_b32_e32 v11, v13, v11, vcc
	v_and_b32_e32 v13, 7, v11
	v_cmp_lt_i32_e32 vcc, 5, v13
	v_cmp_eq_u32_e64 s[0:1], 3, v13
	v_lshrrev_b32_e32 v11, 2, v11
	s_or_b64 vcc, s[0:1], vcc
	v_addc_co_u32_e32 v11, vcc, 0, v11, vcc
	v_mov_b32_e32 v16, 0x7c00
	v_cmp_gt_i32_e32 vcc, 31, v12
	v_cvt_f32_f16_e32 v1, v1
	s_movk_i32 s9, 0x40f
	v_cndmask_b32_e32 v11, v16, v11, vcc
	v_cmp_ne_u32_e32 vcc, 0, v6
	v_and_b32_sdwa v13, v7, s8 dst_sel:DWORD dst_unused:UNUSED_PAD src0_sel:WORD_1 src1_sel:DWORD
	v_lshl_add_u64 v[2:3], v[4:5], 2, v[2:3]
	v_cndmask_b32_e64 v6, 0, 1, vcc
	v_lshl_or_b32 v6, v6, 9, v16
	v_cmp_eq_u32_e32 vcc, s9, v12
	s_nop 1
	v_cndmask_b32_e32 v12, v11, v6, vcc
	v_cvt_f64_f32_e32 v[6:7], v1
	v_mul_f64 v[6:7], v[6:7], s[2:3]
	v_and_or_b32 v1, v7, s6, v6
	v_cmp_ne_u32_e32 vcc, 0, v1
	v_lshrrev_b32_e32 v6, 8, v7
	v_bfe_u32 v8, v7, 20, 11
	v_cndmask_b32_e64 v1, 0, 1, vcc
	v_and_or_b32 v1, v6, s7, v1
	v_sub_u32_e32 v10, 0x3f1, v8
	v_or_b32_e32 v6, 0x1000, v1
	v_med3_i32 v10, v10, 0, 13
	v_lshrrev_b32_e32 v11, v10, v6
	v_lshlrev_b32_e32 v10, v10, v11
	v_cmp_ne_u32_e32 vcc, v10, v6
	v_add_u32_e32 v8, 0xfffffc10, v8
	v_lshl_or_b32 v10, v8, 12, v1
	v_cndmask_b32_e64 v6, 0, 1, vcc
	v_or_b32_e32 v6, v11, v6
	v_cmp_gt_i32_e32 vcc, 1, v8
	s_nop 1
	v_cndmask_b32_e32 v6, v10, v6, vcc
	v_and_b32_e32 v10, 7, v6
	v_cmp_lt_i32_e32 vcc, 5, v10
	v_cmp_eq_u32_e64 s[0:1], 3, v10
	v_lshrrev_b32_e32 v6, 2, v6
	s_or_b64 vcc, s[0:1], vcc
	v_addc_co_u32_e32 v6, vcc, 0, v6, vcc
	v_cmp_gt_i32_e32 vcc, 31, v8
	s_nop 1
	v_cndmask_b32_e32 v6, v16, v6, vcc
	v_cmp_ne_u32_e32 vcc, 0, v1
	s_nop 1
	v_cndmask_b32_e64 v1, 0, 1, vcc
	v_lshl_or_b32 v1, v1, 9, v16
	v_cmp_eq_u32_e32 vcc, s9, v8
	s_nop 1
	v_cndmask_b32_e32 v1, v6, v1, vcc
	v_lshrrev_b32_e32 v6, 16, v7
	v_and_or_b32 v14, v6, s8, v1
	v_mad_u64_u32 v[6:7], s[0:1], s4, v0, 0
	v_mov_b32_e32 v8, v7
	v_mad_u64_u32 v[10:11], s[0:1], s5, v0, v[8:9]
	ds_read2st64_b32 v[0:1], v57 offset0:16 offset1:24
	v_mov_b32_e32 v7, v10
	v_bitop3_b32 v8, v13, s10, v12 bitop3:0xc8
	v_lshl_or_b32 v8, v14, 16, v8
	v_lshl_add_u64 v[2:3], v[6:7], 2, v[2:3]
	s_waitcnt lgkmcnt(0)
	v_lshrrev_b32_e32 v10, 16, v1
	v_mul_f16_sdwa v11, v75, v10 dst_sel:DWORD dst_unused:UNUSED_PAD src0_sel:WORD_1 src1_sel:DWORD
	v_fma_f16 v11, v75, v1, v11
	v_cvt_f32_f16_e32 v11, v11
	global_store_dword v[2:3], v8, off
	v_mul_f16_sdwa v1, v75, v1 dst_sel:DWORD dst_unused:UNUSED_PAD src0_sel:WORD_1 src1_sel:DWORD
	v_fma_f16 v1, v75, v10, -v1
	v_cvt_f64_f32_e32 v[4:5], v11
	v_mul_f64 v[4:5], v[4:5], s[2:3]
	v_and_or_b32 v4, v5, s6, v4
	v_cmp_ne_u32_e32 vcc, 0, v4
	v_lshrrev_b32_e32 v6, 8, v5
	v_bfe_u32 v7, v5, 20, 11
	v_cndmask_b32_e64 v4, 0, 1, vcc
	v_and_or_b32 v4, v6, s7, v4
	v_sub_u32_e32 v8, 0x3f1, v7
	v_or_b32_e32 v6, 0x1000, v4
	v_med3_i32 v8, v8, 0, 13
	v_lshrrev_b32_e32 v11, v8, v6
	v_lshlrev_b32_e32 v8, v8, v11
	v_cmp_ne_u32_e32 vcc, v8, v6
	v_add_u32_e32 v7, 0xfffffc10, v7
	v_lshl_or_b32 v8, v7, 12, v4
	v_cndmask_b32_e64 v6, 0, 1, vcc
	v_or_b32_e32 v6, v11, v6
	v_cmp_gt_i32_e32 vcc, 1, v7
	v_cvt_f32_f16_e32 v1, v1
	s_nop 0
	v_cndmask_b32_e32 v6, v8, v6, vcc
	v_and_b32_e32 v8, 7, v6
	v_cmp_lt_i32_e32 vcc, 5, v8
	v_cmp_eq_u32_e64 s[0:1], 3, v8
	v_lshrrev_b32_e32 v6, 2, v6
	s_or_b64 vcc, s[0:1], vcc
	v_addc_co_u32_e32 v6, vcc, 0, v6, vcc
	v_cmp_gt_i32_e32 vcc, 31, v7
	s_nop 1
	v_cndmask_b32_e32 v6, v16, v6, vcc
	v_cmp_ne_u32_e32 vcc, 0, v4
	s_nop 1
	v_cndmask_b32_e64 v4, 0, 1, vcc
	v_lshl_or_b32 v4, v4, 9, v16
	v_cmp_eq_u32_e32 vcc, s9, v7
	v_and_b32_sdwa v7, v5, s8 dst_sel:DWORD dst_unused:UNUSED_PAD src0_sel:WORD_1 src1_sel:DWORD
	s_nop 0
	v_cndmask_b32_e32 v6, v6, v4, vcc
	v_cvt_f64_f32_e32 v[4:5], v1
	v_mul_f64 v[4:5], v[4:5], s[2:3]
	v_and_or_b32 v1, v5, s6, v4
	v_cmp_ne_u32_e32 vcc, 0, v1
	v_lshrrev_b32_e32 v4, 8, v5
	v_bfe_u32 v8, v5, 20, 11
	v_cndmask_b32_e64 v1, 0, 1, vcc
	v_and_or_b32 v1, v4, s7, v1
	v_sub_u32_e32 v10, 0x3f1, v8
	v_or_b32_e32 v4, 0x1000, v1
	v_med3_i32 v10, v10, 0, 13
	v_lshrrev_b32_e32 v11, v10, v4
	v_lshlrev_b32_e32 v10, v10, v11
	v_cmp_ne_u32_e32 vcc, v10, v4
	v_add_u32_e32 v8, 0xfffffc10, v8
	v_lshl_or_b32 v10, v8, 12, v1
	v_cndmask_b32_e64 v4, 0, 1, vcc
	v_or_b32_e32 v4, v11, v4
	v_cmp_gt_i32_e32 vcc, 1, v8
	s_nop 1
	v_cndmask_b32_e32 v4, v10, v4, vcc
	v_and_b32_e32 v10, 7, v4
	v_cmp_lt_i32_e32 vcc, 5, v10
	v_cmp_eq_u32_e64 s[0:1], 3, v10
	v_lshrrev_b32_e32 v4, 2, v4
	s_or_b64 vcc, s[0:1], vcc
	v_addc_co_u32_e32 v4, vcc, 0, v4, vcc
	v_cmp_gt_i32_e32 vcc, 31, v8
	ds_read2st64_b32 v[10:11], v57 offset0:48 offset1:56
	s_nop 0
	v_cndmask_b32_e32 v4, v16, v4, vcc
	v_cmp_ne_u32_e32 vcc, 0, v1
	s_nop 1
	v_cndmask_b32_e64 v1, 0, 1, vcc
	v_lshl_or_b32 v1, v1, 9, v16
	v_cmp_eq_u32_e32 vcc, s9, v8
	s_nop 1
	v_cndmask_b32_e32 v1, v4, v1, vcc
	v_lshrrev_b32_e32 v4, 16, v5
	v_and_or_b32 v1, v4, s8, v1
	v_bitop3_b32 v4, v7, s10, v6 bitop3:0xc8
	s_waitcnt lgkmcnt(0)
	v_lshrrev_b32_e32 v6, 16, v10
	v_lshl_or_b32 v1, v1, 16, v4
	v_mad_u64_u32 v[4:5], s[0:1], s4, v25, v[2:3]
	v_mul_f16_sdwa v2, v74, v6 dst_sel:DWORD dst_unused:UNUSED_PAD src0_sel:WORD_1 src1_sel:DWORD
	v_fma_f16 v2, v74, v10, v2
	v_cvt_f32_f16_e32 v2, v2
	v_add_u32_e32 v5, s11, v5
	global_store_dword v[4:5], v1, off
	v_cvt_f64_f32_e32 v[2:3], v2
	v_mul_f64 v[2:3], v[2:3], s[2:3]
	v_and_or_b32 v1, v3, s6, v2
	v_cmp_ne_u32_e32 vcc, 0, v1
	v_lshrrev_b32_e32 v2, 8, v3
	v_bfe_u32 v7, v3, 20, 11
	v_cndmask_b32_e64 v1, 0, 1, vcc
	v_and_or_b32 v1, v2, s7, v1
	v_sub_u32_e32 v8, 0x3f1, v7
	v_or_b32_e32 v2, 0x1000, v1
	v_med3_i32 v8, v8, 0, 13
	v_lshrrev_b32_e32 v12, v8, v2
	v_lshlrev_b32_e32 v8, v8, v12
	v_cmp_ne_u32_e32 vcc, v8, v2
	v_add_u32_e32 v7, 0xfffffc10, v7
	v_lshl_or_b32 v8, v7, 12, v1
	v_cndmask_b32_e64 v2, 0, 1, vcc
	v_or_b32_e32 v2, v12, v2
	v_cmp_gt_i32_e32 vcc, 1, v7
	s_nop 1
	v_cndmask_b32_e32 v2, v8, v2, vcc
	v_and_b32_e32 v8, 7, v2
	v_cmp_lt_i32_e32 vcc, 5, v8
	v_cmp_eq_u32_e64 s[0:1], 3, v8
	v_lshrrev_b32_e32 v2, 2, v2
	s_or_b64 vcc, s[0:1], vcc
	v_mul_f16_sdwa v8, v74, v10 dst_sel:DWORD dst_unused:UNUSED_PAD src0_sel:WORD_1 src1_sel:DWORD
	v_addc_co_u32_e32 v2, vcc, 0, v2, vcc
	v_fma_f16 v6, v74, v6, -v8
	v_cmp_gt_i32_e32 vcc, 31, v7
	v_cvt_f32_f16_e32 v6, v6
	v_and_b32_sdwa v8, v3, s8 dst_sel:DWORD dst_unused:UNUSED_PAD src0_sel:WORD_1 src1_sel:DWORD
	v_cndmask_b32_e32 v2, v16, v2, vcc
	v_cmp_ne_u32_e32 vcc, 0, v1
	s_nop 1
	v_cndmask_b32_e64 v1, 0, 1, vcc
	v_lshl_or_b32 v1, v1, 9, v16
	v_cmp_eq_u32_e32 vcc, s9, v7
	s_nop 1
	v_cndmask_b32_e32 v1, v2, v1, vcc
	v_cvt_f64_f32_e32 v[2:3], v6
	v_mul_f64 v[6:7], v[2:3], s[2:3]
	v_and_or_b32 v2, v7, s6, v6
	v_cmp_ne_u32_e32 vcc, 0, v2
	v_lshrrev_b32_e32 v3, 8, v7
	v_bfe_u32 v6, v7, 20, 11
	v_cndmask_b32_e64 v2, 0, 1, vcc
	v_and_or_b32 v2, v3, s7, v2
	v_sub_u32_e32 v10, 0x3f1, v6
	v_or_b32_e32 v3, 0x1000, v2
	v_med3_i32 v10, v10, 0, 13
	v_lshrrev_b32_e32 v12, v10, v3
	v_lshlrev_b32_e32 v10, v10, v12
	v_cmp_ne_u32_e32 vcc, v10, v3
	v_add_u32_e32 v6, 0xfffffc10, v6
	v_lshl_or_b32 v10, v6, 12, v2
	v_cndmask_b32_e64 v3, 0, 1, vcc
	v_or_b32_e32 v3, v12, v3
	v_cmp_gt_i32_e32 vcc, 1, v6
	v_lshrrev_b32_e32 v7, 16, v7
	v_bitop3_b32 v1, v8, s10, v1 bitop3:0xc8
	v_cndmask_b32_e32 v3, v10, v3, vcc
	v_and_b32_e32 v10, 7, v3
	v_cmp_lt_i32_e32 vcc, 5, v10
	v_cmp_eq_u32_e64 s[0:1], 3, v10
	v_lshrrev_b32_e32 v3, 2, v3
	s_or_b64 vcc, s[0:1], vcc
	v_addc_co_u32_e32 v3, vcc, 0, v3, vcc
	v_cmp_gt_i32_e32 vcc, 31, v6
	v_mad_u64_u32 v[4:5], s[0:1], s4, v25, v[4:5]
	s_nop 0
	v_cndmask_b32_e32 v3, v16, v3, vcc
	v_cmp_ne_u32_e32 vcc, 0, v2
	v_add_u32_e32 v5, s11, v5
	s_nop 0
	v_cndmask_b32_e64 v2, 0, 1, vcc
	v_lshl_or_b32 v2, v2, 9, v16
	v_cmp_eq_u32_e32 vcc, s9, v6
	s_nop 1
	v_cndmask_b32_e32 v6, v3, v2, vcc
	ds_read2st64_b32 v[2:3], v57 offset0:64 offset1:72
	v_and_or_b32 v6, v7, s8, v6
	v_lshl_or_b32 v1, v6, 16, v1
	global_store_dword v[4:5], v1, off
	s_waitcnt lgkmcnt(0)
	v_lshrrev_b32_e32 v8, 16, v3
	v_mul_f16_sdwa v6, v73, v8 dst_sel:DWORD dst_unused:UNUSED_PAD src0_sel:WORD_1 src1_sel:DWORD
	v_fma_f16 v6, v73, v3, v6
	v_cvt_f32_f16_e32 v6, v6
	v_mul_f16_sdwa v3, v73, v3 dst_sel:DWORD dst_unused:UNUSED_PAD src0_sel:WORD_1 src1_sel:DWORD
	v_fma_f16 v3, v73, v8, -v3
	v_cvt_f32_f16_e32 v3, v3
	v_cvt_f64_f32_e32 v[6:7], v6
	v_mul_f64 v[6:7], v[6:7], s[2:3]
	v_and_or_b32 v1, v7, s6, v6
	v_cmp_ne_u32_e32 vcc, 0, v1
	v_lshrrev_b32_e32 v6, 8, v7
	v_bfe_u32 v10, v7, 20, 11
	v_cndmask_b32_e64 v1, 0, 1, vcc
	v_and_or_b32 v1, v6, s7, v1
	v_sub_u32_e32 v12, 0x3f1, v10
	v_or_b32_e32 v6, 0x1000, v1
	v_med3_i32 v12, v12, 0, 13
	v_lshrrev_b32_e32 v13, v12, v6
	v_lshlrev_b32_e32 v12, v12, v13
	v_cmp_ne_u32_e32 vcc, v12, v6
	v_add_u32_e32 v10, 0xfffffc10, v10
	v_lshl_or_b32 v12, v10, 12, v1
	v_cndmask_b32_e64 v6, 0, 1, vcc
	v_or_b32_e32 v6, v13, v6
	v_cmp_gt_i32_e32 vcc, 1, v10
	v_and_b32_sdwa v8, v7, s8 dst_sel:DWORD dst_unused:UNUSED_PAD src0_sel:WORD_1 src1_sel:DWORD
	s_nop 0
	v_cndmask_b32_e32 v6, v12, v6, vcc
	v_and_b32_e32 v12, 7, v6
	v_cmp_lt_i32_e32 vcc, 5, v12
	v_cmp_eq_u32_e64 s[0:1], 3, v12
	v_lshrrev_b32_e32 v6, 2, v6
	s_or_b64 vcc, s[0:1], vcc
	v_addc_co_u32_e32 v6, vcc, 0, v6, vcc
	v_cmp_gt_i32_e32 vcc, 31, v10
	s_nop 1
	v_cndmask_b32_e32 v6, v16, v6, vcc
	v_cmp_ne_u32_e32 vcc, 0, v1
	s_nop 1
	v_cndmask_b32_e64 v1, 0, 1, vcc
	v_lshl_or_b32 v1, v1, 9, v16
	v_cmp_eq_u32_e32 vcc, s9, v10
	s_nop 1
	v_cndmask_b32_e32 v1, v6, v1, vcc
	v_cvt_f64_f32_e32 v[6:7], v3
	v_mul_f64 v[6:7], v[6:7], s[2:3]
	v_and_or_b32 v3, v7, s6, v6
	v_cmp_ne_u32_e32 vcc, 0, v3
	v_lshrrev_b32_e32 v6, 8, v7
	v_bfe_u32 v10, v7, 20, 11
	v_cndmask_b32_e64 v3, 0, 1, vcc
	v_and_or_b32 v3, v6, s7, v3
	v_sub_u32_e32 v12, 0x3f1, v10
	v_or_b32_e32 v6, 0x1000, v3
	v_med3_i32 v12, v12, 0, 13
	v_lshrrev_b32_e32 v13, v12, v6
	v_lshlrev_b32_e32 v12, v12, v13
	v_cmp_ne_u32_e32 vcc, v12, v6
	v_add_u32_e32 v10, 0xfffffc10, v10
	v_lshl_or_b32 v12, v10, 12, v3
	v_cndmask_b32_e64 v6, 0, 1, vcc
	v_or_b32_e32 v6, v13, v6
	v_cmp_gt_i32_e32 vcc, 1, v10
	v_bitop3_b32 v1, v8, s10, v1 bitop3:0xc8
	s_nop 0
	v_cndmask_b32_e32 v6, v12, v6, vcc
	v_and_b32_e32 v12, 7, v6
	v_cmp_lt_i32_e32 vcc, 5, v12
	v_cmp_eq_u32_e64 s[0:1], 3, v12
	v_lshrrev_b32_e32 v6, 2, v6
	s_or_b64 vcc, s[0:1], vcc
	v_addc_co_u32_e32 v6, vcc, 0, v6, vcc
	v_cmp_gt_i32_e32 vcc, 31, v10
	ds_read2st64_b32 v[12:13], v57 offset0:96 offset1:104
	s_nop 0
	v_cndmask_b32_e32 v6, v16, v6, vcc
	v_cmp_ne_u32_e32 vcc, 0, v3
	s_nop 1
	v_cndmask_b32_e64 v3, 0, 1, vcc
	v_lshl_or_b32 v3, v3, 9, v16
	v_cmp_eq_u32_e32 vcc, s9, v10
	s_nop 1
	v_cndmask_b32_e32 v3, v6, v3, vcc
	v_lshrrev_b32_e32 v6, 16, v7
	v_and_or_b32 v3, v6, s8, v3
	v_lshl_or_b32 v1, v3, 16, v1
	s_waitcnt lgkmcnt(0)
	v_lshrrev_b32_e32 v3, 16, v12
	v_mul_f16_sdwa v6, v72, v3 dst_sel:DWORD dst_unused:UNUSED_PAD src0_sel:WORD_1 src1_sel:DWORD
	v_fma_f16 v6, v72, v12, v6
	v_cvt_f32_f16_e32 v8, v6
	v_mad_u64_u32 v[6:7], s[0:1], s4, v25, v[4:5]
	v_add_u32_e32 v7, s11, v7
	v_cvt_f64_f32_e32 v[4:5], v8
	v_mul_f64 v[4:5], v[4:5], s[2:3]
	global_store_dword v[6:7], v1, off
	v_and_or_b32 v1, v5, s6, v4
	v_cmp_ne_u32_e32 vcc, 0, v1
	v_lshrrev_b32_e32 v4, 8, v5
	v_bfe_u32 v8, v5, 20, 11
	v_cndmask_b32_e64 v1, 0, 1, vcc
	v_and_or_b32 v1, v4, s7, v1
	v_sub_u32_e32 v10, 0x3f1, v8
	v_or_b32_e32 v4, 0x1000, v1
	v_med3_i32 v10, v10, 0, 13
	v_lshrrev_b32_e32 v14, v10, v4
	v_lshlrev_b32_e32 v10, v10, v14
	v_cmp_ne_u32_e32 vcc, v10, v4
	v_add_u32_e32 v8, 0xfffffc10, v8
	v_lshl_or_b32 v10, v8, 12, v1
	v_cndmask_b32_e64 v4, 0, 1, vcc
	v_or_b32_e32 v4, v14, v4
	v_cmp_gt_i32_e32 vcc, 1, v8
	s_nop 1
	v_cndmask_b32_e32 v4, v10, v4, vcc
	v_and_b32_e32 v10, 7, v4
	v_cmp_lt_i32_e32 vcc, 5, v10
	v_cmp_eq_u32_e64 s[0:1], 3, v10
	v_lshrrev_b32_e32 v4, 2, v4
	s_or_b64 vcc, s[0:1], vcc
	v_mul_f16_sdwa v10, v72, v12 dst_sel:DWORD dst_unused:UNUSED_PAD src0_sel:WORD_1 src1_sel:DWORD
	v_addc_co_u32_e32 v4, vcc, 0, v4, vcc
	v_fma_f16 v3, v72, v3, -v10
	v_cmp_gt_i32_e32 vcc, 31, v8
	v_cvt_f32_f16_e32 v3, v3
	s_nop 0
	v_cndmask_b32_e32 v4, v16, v4, vcc
	v_cmp_ne_u32_e32 vcc, 0, v1
	s_nop 1
	v_cndmask_b32_e64 v1, 0, 1, vcc
	v_lshl_or_b32 v1, v1, 9, v16
	v_cmp_eq_u32_e32 vcc, s9, v8
	v_and_b32_sdwa v8, v5, s8 dst_sel:DWORD dst_unused:UNUSED_PAD src0_sel:WORD_1 src1_sel:DWORD
	s_nop 0
	v_cndmask_b32_e32 v1, v4, v1, vcc
	v_cvt_f64_f32_e32 v[4:5], v3
	v_mul_f64 v[14:15], v[4:5], s[2:3]
	v_and_or_b32 v3, v15, s6, v14
	v_cmp_ne_u32_e32 vcc, 0, v3
	v_lshrrev_b32_e32 v4, 8, v15
	v_bfe_u32 v5, v15, 20, 11
	v_cndmask_b32_e64 v3, 0, 1, vcc
	v_and_or_b32 v3, v4, s7, v3
	v_sub_u32_e32 v10, 0x3f1, v5
	v_or_b32_e32 v4, 0x1000, v3
	v_med3_i32 v10, v10, 0, 13
	v_lshrrev_b32_e32 v12, v10, v4
	v_lshlrev_b32_e32 v10, v10, v12
	v_cmp_ne_u32_e32 vcc, v10, v4
	v_add_u32_e32 v5, 0xfffffc10, v5
	v_lshl_or_b32 v10, v5, 12, v3
	v_cndmask_b32_e64 v4, 0, 1, vcc
	v_or_b32_e32 v4, v12, v4
	v_cmp_gt_i32_e32 vcc, 1, v5
	v_bitop3_b32 v1, v8, s10, v1 bitop3:0xc8
	s_nop 0
	v_cndmask_b32_e32 v4, v10, v4, vcc
	v_and_b32_e32 v10, 7, v4
	v_cmp_lt_i32_e32 vcc, 5, v10
	v_cmp_eq_u32_e64 s[0:1], 3, v10
	v_lshrrev_b32_e32 v4, 2, v4
	s_or_b64 vcc, s[0:1], vcc
	v_addc_co_u32_e32 v4, vcc, 0, v4, vcc
	v_cmp_gt_i32_e32 vcc, 31, v5
	v_lshrrev_b32_e32 v10, 16, v15
	v_mad_u64_u32 v[6:7], s[0:1], s4, v25, v[6:7]
	v_cndmask_b32_e32 v4, v16, v4, vcc
	v_cmp_ne_u32_e32 vcc, 0, v3
	v_add_u32_e32 v7, s11, v7
	s_nop 0
	v_cndmask_b32_e64 v3, 0, 1, vcc
	v_lshl_or_b32 v3, v3, 9, v16
	v_cmp_eq_u32_e32 vcc, s9, v5
	s_nop 1
	v_cndmask_b32_e32 v3, v4, v3, vcc
	ds_read2st64_b32 v[4:5], v57 offset0:112 offset1:120
	v_and_or_b32 v3, v10, s8, v3
	v_lshl_or_b32 v1, v3, 16, v1
	global_store_dword v[6:7], v1, off
	s_waitcnt lgkmcnt(0)
	v_lshrrev_b32_e32 v3, 16, v5
	v_mul_f16_sdwa v8, v71, v3 dst_sel:DWORD dst_unused:UNUSED_PAD src0_sel:WORD_1 src1_sel:DWORD
	v_fma_f16 v8, v71, v5, v8
	v_cvt_f32_f16_e32 v8, v8
	v_mul_f16_sdwa v5, v71, v5 dst_sel:DWORD dst_unused:UNUSED_PAD src0_sel:WORD_1 src1_sel:DWORD
	v_fma_f16 v3, v71, v3, -v5
	v_cvt_f32_f16_e32 v3, v3
	v_cvt_f64_f32_e32 v[14:15], v8
	v_mul_f64 v[14:15], v[14:15], s[2:3]
	v_and_or_b32 v1, v15, s6, v14
	v_cmp_ne_u32_e32 vcc, 0, v1
	v_lshrrev_b32_e32 v8, 8, v15
	v_bfe_u32 v10, v15, 20, 11
	v_cndmask_b32_e64 v1, 0, 1, vcc
	v_and_or_b32 v1, v8, s7, v1
	v_sub_u32_e32 v12, 0x3f1, v10
	v_or_b32_e32 v8, 0x1000, v1
	v_med3_i32 v12, v12, 0, 13
	v_lshrrev_b32_e32 v14, v12, v8
	v_lshlrev_b32_e32 v12, v12, v14
	v_cmp_ne_u32_e32 vcc, v12, v8
	v_add_u32_e32 v10, 0xfffffc10, v10
	v_lshl_or_b32 v12, v10, 12, v1
	v_cndmask_b32_e64 v8, 0, 1, vcc
	v_or_b32_e32 v8, v14, v8
	v_cmp_gt_i32_e32 vcc, 1, v10
	v_and_b32_sdwa v5, v15, s8 dst_sel:DWORD dst_unused:UNUSED_PAD src0_sel:WORD_1 src1_sel:DWORD
	v_cvt_f64_f32_e32 v[14:15], v3
	v_cndmask_b32_e32 v8, v12, v8, vcc
	v_and_b32_e32 v12, 7, v8
	v_cmp_lt_i32_e32 vcc, 5, v12
	v_cmp_eq_u32_e64 s[0:1], 3, v12
	v_lshrrev_b32_e32 v8, 2, v8
	s_or_b64 vcc, s[0:1], vcc
	v_addc_co_u32_e32 v8, vcc, 0, v8, vcc
	v_cmp_gt_i32_e32 vcc, 31, v10
	v_mul_f64 v[18:19], v[14:15], s[2:3]
	v_and_or_b32 v3, v19, s6, v18
	v_cndmask_b32_e32 v8, v16, v8, vcc
	v_cmp_ne_u32_e32 vcc, 0, v1
	s_nop 1
	v_cndmask_b32_e64 v1, 0, 1, vcc
	v_lshl_or_b32 v1, v1, 9, v16
	v_cmp_eq_u32_e32 vcc, s9, v10
	v_bfe_u32 v10, v19, 20, 11
	v_sub_u32_e32 v12, 0x3f1, v10
	v_cndmask_b32_e32 v1, v8, v1, vcc
	v_cmp_ne_u32_e32 vcc, 0, v3
	v_lshrrev_b32_e32 v8, 8, v19
	v_med3_i32 v12, v12, 0, 13
	v_cndmask_b32_e64 v3, 0, 1, vcc
	v_and_or_b32 v3, v8, s7, v3
	v_or_b32_e32 v8, 0x1000, v3
	v_lshrrev_b32_e32 v14, v12, v8
	v_lshlrev_b32_e32 v12, v12, v14
	v_cmp_ne_u32_e32 vcc, v12, v8
	v_add_u32_e32 v10, 0xfffffc10, v10
	v_lshl_or_b32 v12, v10, 12, v3
	v_cndmask_b32_e64 v8, 0, 1, vcc
	v_or_b32_e32 v8, v14, v8
	v_cmp_gt_i32_e32 vcc, 1, v10
	ds_read2st64_b32 v[14:15], v57 offset0:144 offset1:152
	v_bitop3_b32 v1, v5, s10, v1 bitop3:0xc8
	v_cndmask_b32_e32 v8, v12, v8, vcc
	v_and_b32_e32 v12, 7, v8
	v_cmp_lt_i32_e32 vcc, 5, v12
	v_cmp_eq_u32_e64 s[0:1], 3, v12
	v_lshrrev_b32_e32 v8, 2, v8
	s_or_b64 vcc, s[0:1], vcc
	v_addc_co_u32_e32 v8, vcc, 0, v8, vcc
	v_cmp_gt_i32_e32 vcc, 31, v10
	s_nop 1
	v_cndmask_b32_e32 v8, v16, v8, vcc
	v_cmp_ne_u32_e32 vcc, 0, v3
	s_nop 1
	v_cndmask_b32_e64 v3, 0, 1, vcc
	v_lshl_or_b32 v3, v3, 9, v16
	v_cmp_eq_u32_e32 vcc, s9, v10
	s_nop 1
	v_cndmask_b32_e32 v3, v8, v3, vcc
	v_lshrrev_b32_e32 v8, 16, v19
	v_and_or_b32 v3, v8, s8, v3
	v_lshl_or_b32 v1, v3, 16, v1
	s_waitcnt lgkmcnt(0)
	v_lshrrev_b32_e32 v3, 16, v14
	v_mul_f16_sdwa v5, v70, v3 dst_sel:DWORD dst_unused:UNUSED_PAD src0_sel:WORD_1 src1_sel:DWORD
	v_fma_f16 v5, v70, v14, v5
	v_cvt_f32_f16_e32 v5, v5
	v_mad_u64_u32 v[18:19], s[0:1], s4, v25, v[6:7]
	v_add_u32_e32 v19, s11, v19
	v_cvt_f64_f32_e32 v[6:7], v5
	v_mul_f64 v[6:7], v[6:7], s[2:3]
	global_store_dword v[18:19], v1, off
	v_and_or_b32 v1, v7, s6, v6
	v_cmp_ne_u32_e32 vcc, 0, v1
	v_lshrrev_b32_e32 v5, 8, v7
	v_bfe_u32 v6, v7, 20, 11
	v_cndmask_b32_e64 v1, 0, 1, vcc
	v_and_or_b32 v1, v5, s7, v1
	v_sub_u32_e32 v8, 0x3f1, v6
	v_or_b32_e32 v5, 0x1000, v1
	v_med3_i32 v8, v8, 0, 13
	v_lshrrev_b32_e32 v10, v8, v5
	v_lshlrev_b32_e32 v8, v8, v10
	v_cmp_ne_u32_e32 vcc, v8, v5
	v_add_u32_e32 v6, 0xfffffc10, v6
	v_lshl_or_b32 v8, v6, 12, v1
	v_cndmask_b32_e64 v5, 0, 1, vcc
	v_or_b32_e32 v5, v10, v5
	v_cmp_gt_i32_e32 vcc, 1, v6
	s_nop 1
	v_cndmask_b32_e32 v5, v8, v5, vcc
	v_and_b32_e32 v8, 7, v5
	v_cmp_lt_i32_e32 vcc, 5, v8
	v_cmp_eq_u32_e64 s[0:1], 3, v8
	v_lshrrev_b32_e32 v5, 2, v5
	s_or_b64 vcc, s[0:1], vcc
	v_mul_f16_sdwa v8, v70, v14 dst_sel:DWORD dst_unused:UNUSED_PAD src0_sel:WORD_1 src1_sel:DWORD
	v_addc_co_u32_e32 v5, vcc, 0, v5, vcc
	v_fma_f16 v3, v70, v3, -v8
	v_cmp_gt_i32_e32 vcc, 31, v6
	v_cvt_f32_f16_e32 v3, v3
	s_nop 0
	v_cndmask_b32_e32 v5, v16, v5, vcc
	v_cmp_ne_u32_e32 vcc, 0, v1
	s_nop 1
	v_cndmask_b32_e64 v1, 0, 1, vcc
	v_lshl_or_b32 v1, v1, 9, v16
	v_cmp_eq_u32_e32 vcc, s9, v6
	s_nop 1
	v_cndmask_b32_e32 v1, v5, v1, vcc
	v_and_b32_sdwa v5, v7, s8 dst_sel:DWORD dst_unused:UNUSED_PAD src0_sel:WORD_1 src1_sel:DWORD
	v_cvt_f64_f32_e32 v[6:7], v3
	v_mul_f64 v[20:21], v[6:7], s[2:3]
	v_and_or_b32 v3, v21, s6, v20
	v_cmp_ne_u32_e32 vcc, 0, v3
	v_lshrrev_b32_e32 v6, 8, v21
	v_bfe_u32 v7, v21, 20, 11
	v_cndmask_b32_e64 v3, 0, 1, vcc
	v_and_or_b32 v3, v6, s7, v3
	v_sub_u32_e32 v8, 0x3f1, v7
	v_or_b32_e32 v6, 0x1000, v3
	v_med3_i32 v8, v8, 0, 13
	v_lshrrev_b32_e32 v10, v8, v6
	v_lshlrev_b32_e32 v8, v8, v10
	v_cmp_ne_u32_e32 vcc, v8, v6
	v_add_u32_e32 v7, 0xfffffc10, v7
	v_lshl_or_b32 v8, v7, 12, v3
	v_cndmask_b32_e64 v6, 0, 1, vcc
	v_or_b32_e32 v6, v10, v6
	v_cmp_gt_i32_e32 vcc, 1, v7
	v_bitop3_b32 v1, v5, s10, v1 bitop3:0xc8
	s_nop 0
	v_cndmask_b32_e32 v6, v8, v6, vcc
	v_and_b32_e32 v8, 7, v6
	v_cmp_lt_i32_e32 vcc, 5, v8
	v_cmp_eq_u32_e64 s[0:1], 3, v8
	v_lshrrev_b32_e32 v6, 2, v6
	s_or_b64 vcc, s[0:1], vcc
	v_addc_co_u32_e32 v6, vcc, 0, v6, vcc
	v_cmp_gt_i32_e32 vcc, 31, v7
	v_lshrrev_b32_e32 v8, 16, v21
	v_mad_u64_u32 v[18:19], s[0:1], s4, v25, v[18:19]
	v_cndmask_b32_e32 v6, v16, v6, vcc
	v_cmp_ne_u32_e32 vcc, 0, v3
	v_add_u32_e32 v19, s11, v19
	s_nop 0
	v_cndmask_b32_e64 v3, 0, 1, vcc
	v_lshl_or_b32 v3, v3, 9, v16
	v_cmp_eq_u32_e32 vcc, s9, v7
	s_nop 1
	v_cndmask_b32_e32 v3, v6, v3, vcc
	ds_read2st64_b32 v[6:7], v57 offset0:160 offset1:168
	v_and_or_b32 v3, v8, s8, v3
	v_lshl_or_b32 v1, v3, 16, v1
	global_store_dword v[18:19], v1, off
	s_waitcnt lgkmcnt(0)
	v_lshrrev_b32_e32 v3, 16, v7
	v_mul_f16_sdwa v5, v69, v3 dst_sel:DWORD dst_unused:UNUSED_PAD src0_sel:WORD_1 src1_sel:DWORD
	v_fma_f16 v5, v69, v7, v5
	v_cvt_f32_f16_e32 v5, v5
	v_mul_f16_sdwa v7, v69, v7 dst_sel:DWORD dst_unused:UNUSED_PAD src0_sel:WORD_1 src1_sel:DWORD
	v_fma_f16 v3, v69, v3, -v7
	v_cvt_f32_f16_e32 v3, v3
	v_cvt_f64_f32_e32 v[20:21], v5
	v_mul_f64 v[20:21], v[20:21], s[2:3]
	v_and_or_b32 v1, v21, s6, v20
	v_cmp_ne_u32_e32 vcc, 0, v1
	v_lshrrev_b32_e32 v5, 8, v21
	v_bfe_u32 v8, v21, 20, 11
	v_cndmask_b32_e64 v1, 0, 1, vcc
	v_and_or_b32 v1, v5, s7, v1
	v_sub_u32_e32 v10, 0x3f1, v8
	v_or_b32_e32 v5, 0x1000, v1
	v_med3_i32 v10, v10, 0, 13
	v_lshrrev_b32_e32 v12, v10, v5
	v_lshlrev_b32_e32 v10, v10, v12
	v_cmp_ne_u32_e32 vcc, v10, v5
	v_add_u32_e32 v8, 0xfffffc10, v8
	v_lshl_or_b32 v10, v8, 12, v1
	v_cndmask_b32_e64 v5, 0, 1, vcc
	v_or_b32_e32 v5, v12, v5
	v_cmp_gt_i32_e32 vcc, 1, v8
	s_nop 1
	v_cndmask_b32_e32 v5, v10, v5, vcc
	v_and_b32_e32 v10, 7, v5
	v_cmp_lt_i32_e32 vcc, 5, v10
	v_cmp_eq_u32_e64 s[0:1], 3, v10
	v_lshrrev_b32_e32 v5, 2, v5
	s_or_b64 vcc, s[0:1], vcc
	v_addc_co_u32_e32 v5, vcc, 0, v5, vcc
	v_cmp_gt_i32_e32 vcc, 31, v8
	s_nop 1
	v_cndmask_b32_e32 v5, v16, v5, vcc
	v_cmp_ne_u32_e32 vcc, 0, v1
	s_nop 1
	v_cndmask_b32_e64 v1, 0, 1, vcc
	v_lshl_or_b32 v1, v1, 9, v16
	v_cmp_eq_u32_e32 vcc, s9, v8
	s_nop 1
	v_cndmask_b32_e32 v1, v5, v1, vcc
	v_and_b32_sdwa v5, v21, s8 dst_sel:DWORD dst_unused:UNUSED_PAD src0_sel:WORD_1 src1_sel:DWORD
	v_cvt_f64_f32_e32 v[20:21], v3
	v_mul_f64 v[20:21], v[20:21], s[2:3]
	v_and_or_b32 v3, v21, s6, v20
	v_cmp_ne_u32_e32 vcc, 0, v3
	v_lshrrev_b32_e32 v7, 8, v21
	v_bfe_u32 v8, v21, 20, 11
	v_cndmask_b32_e64 v3, 0, 1, vcc
	v_and_or_b32 v3, v7, s7, v3
	v_sub_u32_e32 v10, 0x3f1, v8
	v_or_b32_e32 v7, 0x1000, v3
	v_med3_i32 v10, v10, 0, 13
	v_lshrrev_b32_e32 v12, v10, v7
	v_lshlrev_b32_e32 v10, v10, v12
	v_cmp_ne_u32_e32 vcc, v10, v7
	v_add_u32_e32 v8, 0xfffffc10, v8
	v_lshl_or_b32 v10, v8, 12, v3
	v_cndmask_b32_e64 v7, 0, 1, vcc
	v_or_b32_e32 v7, v12, v7
	v_cmp_gt_i32_e32 vcc, 1, v8
	v_bitop3_b32 v1, v5, s10, v1 bitop3:0xc8
	s_nop 0
	v_cndmask_b32_e32 v7, v10, v7, vcc
	v_and_b32_e32 v10, 7, v7
	v_cmp_lt_i32_e32 vcc, 5, v10
	v_cmp_eq_u32_e64 s[0:1], 3, v10
	v_lshrrev_b32_e32 v7, 2, v7
	s_or_b64 vcc, s[0:1], vcc
	v_addc_co_u32_e32 v7, vcc, 0, v7, vcc
	v_cmp_gt_i32_e32 vcc, 31, v8
	v_mad_u64_u32 v[18:19], s[0:1], s4, v25, v[18:19]
	s_nop 0
	v_cndmask_b32_e32 v7, v16, v7, vcc
	v_cmp_ne_u32_e32 vcc, 0, v3
	v_add_u32_e32 v19, s11, v19
	s_nop 0
	v_cndmask_b32_e64 v3, 0, 1, vcc
	v_lshl_or_b32 v3, v3, 9, v16
	v_cmp_eq_u32_e32 vcc, s9, v8
	s_nop 1
	v_cndmask_b32_e32 v3, v7, v3, vcc
	v_lshrrev_b32_e32 v7, 16, v21
	v_and_or_b32 v3, v7, s8, v3
	v_lshl_or_b32 v1, v3, 16, v1
	v_lshrrev_b32_e32 v3, 16, v9
	v_mul_f16_sdwa v5, v68, v3 dst_sel:DWORD dst_unused:UNUSED_PAD src0_sel:WORD_1 src1_sel:DWORD
	v_fma_f16 v5, v68, v9, v5
	v_cvt_f32_f16_e32 v5, v5
	global_store_dword v[18:19], v1, off
	v_cvt_f64_f32_e32 v[20:21], v5
	v_mul_f64 v[20:21], v[20:21], s[2:3]
	v_and_or_b32 v1, v21, s6, v20
	v_cmp_ne_u32_e32 vcc, 0, v1
	v_lshrrev_b32_e32 v5, 8, v21
	v_bfe_u32 v7, v21, 20, 11
	v_cndmask_b32_e64 v1, 0, 1, vcc
	v_and_or_b32 v1, v5, s7, v1
	v_sub_u32_e32 v8, 0x3f1, v7
	v_or_b32_e32 v5, 0x1000, v1
	v_med3_i32 v8, v8, 0, 13
	v_lshrrev_b32_e32 v10, v8, v5
	v_lshlrev_b32_e32 v8, v8, v10
	v_cmp_ne_u32_e32 vcc, v8, v5
	v_add_u32_e32 v7, 0xfffffc10, v7
	v_lshl_or_b32 v8, v7, 12, v1
	v_cndmask_b32_e64 v5, 0, 1, vcc
	v_or_b32_e32 v5, v10, v5
	v_cmp_gt_i32_e32 vcc, 1, v7
	s_nop 1
	v_cndmask_b32_e32 v5, v8, v5, vcc
	v_and_b32_e32 v8, 7, v5
	v_cmp_lt_i32_e32 vcc, 5, v8
	v_cmp_eq_u32_e64 s[0:1], 3, v8
	v_mul_f16_sdwa v8, v68, v9 dst_sel:DWORD dst_unused:UNUSED_PAD src0_sel:WORD_1 src1_sel:DWORD
	v_fma_f16 v3, v68, v3, -v8
	v_cvt_f32_f16_e32 v3, v3
	v_lshrrev_b32_e32 v5, 2, v5
	s_or_b64 vcc, s[0:1], vcc
	v_addc_co_u32_e32 v5, vcc, 0, v5, vcc
	v_cmp_gt_i32_e32 vcc, 31, v7
	v_cvt_f64_f32_e32 v[8:9], v3
	v_mul_f64 v[8:9], v[8:9], s[2:3]
	v_cndmask_b32_e32 v5, v16, v5, vcc
	v_cmp_ne_u32_e32 vcc, 0, v1
	v_and_or_b32 v3, v9, s6, v8
	v_bfe_u32 v8, v9, 20, 11
	v_cndmask_b32_e64 v1, 0, 1, vcc
	v_lshl_or_b32 v1, v1, 9, v16
	v_cmp_eq_u32_e32 vcc, s9, v7
	v_lshrrev_b32_e32 v7, 8, v9
	v_sub_u32_e32 v10, 0x3f1, v8
	v_cndmask_b32_e32 v1, v5, v1, vcc
	v_cmp_ne_u32_e32 vcc, 0, v3
	v_med3_i32 v10, v10, 0, 13
	v_add_u32_e32 v8, 0xfffffc10, v8
	v_cndmask_b32_e64 v3, 0, 1, vcc
	v_and_or_b32 v3, v7, s7, v3
	v_or_b32_e32 v7, 0x1000, v3
	v_lshrrev_b32_e32 v12, v10, v7
	v_lshlrev_b32_e32 v10, v10, v12
	v_cmp_ne_u32_e32 vcc, v10, v7
	v_lshl_or_b32 v10, v8, 12, v3
	v_and_b32_sdwa v5, v21, s8 dst_sel:DWORD dst_unused:UNUSED_PAD src0_sel:WORD_1 src1_sel:DWORD
	v_cndmask_b32_e64 v7, 0, 1, vcc
	v_or_b32_e32 v7, v12, v7
	v_cmp_gt_i32_e32 vcc, 1, v8
	v_bitop3_b32 v1, v5, s10, v1 bitop3:0xc8
	s_nop 0
	v_cndmask_b32_e32 v7, v10, v7, vcc
	v_and_b32_e32 v10, 7, v7
	v_cmp_lt_i32_e32 vcc, 5, v10
	v_cmp_eq_u32_e64 s[0:1], 3, v10
	v_lshrrev_b32_e32 v7, 2, v7
	s_or_b64 vcc, s[0:1], vcc
	v_addc_co_u32_e32 v7, vcc, 0, v7, vcc
	v_cmp_gt_i32_e32 vcc, 31, v8
	v_mad_u64_u32 v[18:19], s[0:1], s4, v43, v[18:19]
	s_nop 0
	v_cndmask_b32_e32 v7, v16, v7, vcc
	v_cmp_ne_u32_e32 vcc, 0, v3
	s_mul_i32 s0, s5, 0xffff6000
	s_sub_i32 s5, s0, s4
	v_cndmask_b32_e64 v3, 0, 1, vcc
	v_lshl_or_b32 v3, v3, 9, v16
	v_cmp_eq_u32_e32 vcc, s9, v8
	v_add_u32_e32 v19, s5, v19
	s_nop 0
	v_cndmask_b32_e32 v3, v7, v3, vcc
	v_lshrrev_b32_e32 v7, 16, v9
	ds_read2st64_b32 v[8:9], v57 offset0:32 offset1:40
	v_and_or_b32 v3, v7, s8, v3
	v_lshl_or_b32 v1, v3, 16, v1
	global_store_dword v[18:19], v1, off
	s_waitcnt lgkmcnt(0)
	v_lshrrev_b32_e32 v3, 16, v8
	v_mul_f16_sdwa v5, v67, v3 dst_sel:DWORD dst_unused:UNUSED_PAD src0_sel:WORD_1 src1_sel:DWORD
	v_fma_f16 v5, v67, v8, v5
	v_cvt_f32_f16_e32 v5, v5
	v_mul_f16_sdwa v8, v67, v8 dst_sel:DWORD dst_unused:UNUSED_PAD src0_sel:WORD_1 src1_sel:DWORD
	v_fma_f16 v3, v67, v3, -v8
	v_cvt_f32_f16_e32 v3, v3
	v_cvt_f64_f32_e32 v[20:21], v5
	v_mul_f64 v[20:21], v[20:21], s[2:3]
	v_and_or_b32 v1, v21, s6, v20
	v_cmp_ne_u32_e32 vcc, 0, v1
	v_lshrrev_b32_e32 v5, 8, v21
	v_bfe_u32 v7, v21, 20, 11
	v_cndmask_b32_e64 v1, 0, 1, vcc
	v_and_or_b32 v1, v5, s7, v1
	v_sub_u32_e32 v10, 0x3f1, v7
	v_or_b32_e32 v5, 0x1000, v1
	v_med3_i32 v10, v10, 0, 13
	v_lshrrev_b32_e32 v12, v10, v5
	v_lshlrev_b32_e32 v10, v10, v12
	v_cmp_ne_u32_e32 vcc, v10, v5
	v_add_u32_e32 v7, 0xfffffc10, v7
	v_lshl_or_b32 v10, v7, 12, v1
	v_cndmask_b32_e64 v5, 0, 1, vcc
	v_or_b32_e32 v5, v12, v5
	v_cmp_gt_i32_e32 vcc, 1, v7
	s_nop 1
	v_cndmask_b32_e32 v5, v10, v5, vcc
	v_and_b32_e32 v10, 7, v5
	v_cmp_lt_i32_e32 vcc, 5, v10
	v_cmp_eq_u32_e64 s[0:1], 3, v10
	v_lshrrev_b32_e32 v5, 2, v5
	s_or_b64 vcc, s[0:1], vcc
	v_addc_co_u32_e32 v5, vcc, 0, v5, vcc
	v_cmp_gt_i32_e32 vcc, 31, v7
	s_nop 1
	v_cndmask_b32_e32 v5, v16, v5, vcc
	v_cmp_ne_u32_e32 vcc, 0, v1
	s_nop 1
	v_cndmask_b32_e64 v1, 0, 1, vcc
	v_lshl_or_b32 v1, v1, 9, v16
	v_cmp_eq_u32_e32 vcc, s9, v7
	s_nop 1
	v_cndmask_b32_e32 v1, v5, v1, vcc
	v_and_b32_sdwa v5, v21, s8 dst_sel:DWORD dst_unused:UNUSED_PAD src0_sel:WORD_1 src1_sel:DWORD
	v_cvt_f64_f32_e32 v[20:21], v3
	v_mul_f64 v[20:21], v[20:21], s[2:3]
	v_and_or_b32 v3, v21, s6, v20
	v_cmp_ne_u32_e32 vcc, 0, v3
	v_lshrrev_b32_e32 v7, 8, v21
	v_bfe_u32 v8, v21, 20, 11
	v_cndmask_b32_e64 v3, 0, 1, vcc
	v_and_or_b32 v3, v7, s7, v3
	v_sub_u32_e32 v10, 0x3f1, v8
	v_or_b32_e32 v7, 0x1000, v3
	v_med3_i32 v10, v10, 0, 13
	v_lshrrev_b32_e32 v12, v10, v7
	v_lshlrev_b32_e32 v10, v10, v12
	v_cmp_ne_u32_e32 vcc, v10, v7
	v_add_u32_e32 v8, 0xfffffc10, v8
	v_lshl_or_b32 v10, v8, 12, v3
	v_cndmask_b32_e64 v7, 0, 1, vcc
	v_or_b32_e32 v7, v12, v7
	v_cmp_gt_i32_e32 vcc, 1, v8
	v_bitop3_b32 v1, v5, s10, v1 bitop3:0xc8
	s_nop 0
	v_cndmask_b32_e32 v7, v10, v7, vcc
	v_and_b32_e32 v10, 7, v7
	v_cmp_lt_i32_e32 vcc, 5, v10
	v_cmp_eq_u32_e64 s[0:1], 3, v10
	v_lshrrev_b32_e32 v7, 2, v7
	s_or_b64 vcc, s[0:1], vcc
	v_addc_co_u32_e32 v7, vcc, 0, v7, vcc
	v_cmp_gt_i32_e32 vcc, 31, v8
	v_mad_u64_u32 v[18:19], s[0:1], s4, v25, v[18:19]
	s_nop 0
	v_cndmask_b32_e32 v7, v16, v7, vcc
	v_cmp_ne_u32_e32 vcc, 0, v3
	v_add_u32_e32 v19, s11, v19
	s_nop 0
	v_cndmask_b32_e64 v3, 0, 1, vcc
	v_lshl_or_b32 v3, v3, 9, v16
	v_cmp_eq_u32_e32 vcc, s9, v8
	s_nop 1
	v_cndmask_b32_e32 v3, v7, v3, vcc
	v_lshrrev_b32_e32 v7, 16, v21
	v_and_or_b32 v3, v7, s8, v3
	v_lshl_or_b32 v1, v3, 16, v1
	v_lshrrev_b32_e32 v3, 16, v11
	v_mul_f16_sdwa v5, v65, v3 dst_sel:DWORD dst_unused:UNUSED_PAD src0_sel:WORD_1 src1_sel:DWORD
	v_fma_f16 v5, v65, v11, v5
	v_cvt_f32_f16_e32 v5, v5
	global_store_dword v[18:19], v1, off
	v_cvt_f64_f32_e32 v[20:21], v5
	v_mul_f64 v[20:21], v[20:21], s[2:3]
	v_and_or_b32 v1, v21, s6, v20
	v_cmp_ne_u32_e32 vcc, 0, v1
	v_lshrrev_b32_e32 v5, 8, v21
	v_bfe_u32 v7, v21, 20, 11
	v_cndmask_b32_e64 v1, 0, 1, vcc
	v_and_or_b32 v1, v5, s7, v1
	v_sub_u32_e32 v8, 0x3f1, v7
	v_or_b32_e32 v5, 0x1000, v1
	v_med3_i32 v8, v8, 0, 13
	v_lshrrev_b32_e32 v10, v8, v5
	v_lshlrev_b32_e32 v8, v8, v10
	v_cmp_ne_u32_e32 vcc, v8, v5
	v_add_u32_e32 v7, 0xfffffc10, v7
	v_lshl_or_b32 v8, v7, 12, v1
	v_cndmask_b32_e64 v5, 0, 1, vcc
	v_or_b32_e32 v5, v10, v5
	v_cmp_gt_i32_e32 vcc, 1, v7
	s_nop 1
	v_cndmask_b32_e32 v5, v8, v5, vcc
	v_and_b32_e32 v8, 7, v5
	v_cmp_lt_i32_e32 vcc, 5, v8
	v_cmp_eq_u32_e64 s[0:1], 3, v8
	v_mul_f16_sdwa v8, v65, v11 dst_sel:DWORD dst_unused:UNUSED_PAD src0_sel:WORD_1 src1_sel:DWORD
	v_lshrrev_b32_e32 v5, 2, v5
	s_or_b64 vcc, s[0:1], vcc
	v_fma_f16 v3, v65, v3, -v8
	v_addc_co_u32_e32 v5, vcc, 0, v5, vcc
	v_cvt_f32_f16_e32 v3, v3
	v_cmp_gt_i32_e32 vcc, 31, v7
	v_cvt_f64_f32_e32 v[10:11], v3
	s_nop 0
	v_cndmask_b32_e32 v5, v16, v5, vcc
	v_cmp_ne_u32_e32 vcc, 0, v1
	s_nop 1
	v_cndmask_b32_e64 v1, 0, 1, vcc
	v_lshl_or_b32 v1, v1, 9, v16
	v_cmp_eq_u32_e32 vcc, s9, v7
	s_nop 1
	v_cndmask_b32_e32 v1, v5, v1, vcc
	v_and_b32_sdwa v5, v21, s8 dst_sel:DWORD dst_unused:UNUSED_PAD src0_sel:WORD_1 src1_sel:DWORD
	v_mul_f64 v[20:21], v[10:11], s[2:3]
	v_and_or_b32 v3, v21, s6, v20
	v_cmp_ne_u32_e32 vcc, 0, v3
	v_lshrrev_b32_e32 v7, 8, v21
	v_bfe_u32 v8, v21, 20, 11
	v_cndmask_b32_e64 v3, 0, 1, vcc
	v_and_or_b32 v3, v7, s7, v3
	v_sub_u32_e32 v10, 0x3f1, v8
	v_or_b32_e32 v7, 0x1000, v3
	v_med3_i32 v10, v10, 0, 13
	v_lshrrev_b32_e32 v11, v10, v7
	v_lshlrev_b32_e32 v10, v10, v11
	v_cmp_ne_u32_e32 vcc, v10, v7
	v_add_u32_e32 v8, 0xfffffc10, v8
	v_lshl_or_b32 v10, v8, 12, v3
	v_cndmask_b32_e64 v7, 0, 1, vcc
	v_or_b32_e32 v7, v11, v7
	v_cmp_gt_i32_e32 vcc, 1, v8
	v_bitop3_b32 v1, v5, s10, v1 bitop3:0xc8
	s_nop 0
	v_cndmask_b32_e32 v7, v10, v7, vcc
	v_and_b32_e32 v10, 7, v7
	v_cmp_lt_i32_e32 vcc, 5, v10
	v_cmp_eq_u32_e64 s[0:1], 3, v10
	v_lshrrev_b32_e32 v7, 2, v7
	s_or_b64 vcc, s[0:1], vcc
	v_addc_co_u32_e32 v7, vcc, 0, v7, vcc
	v_cmp_gt_i32_e32 vcc, 31, v8
	ds_read2st64_b32 v[10:11], v57 offset0:80 offset1:88
	v_mad_u64_u32 v[18:19], s[0:1], s4, v25, v[18:19]
	v_cndmask_b32_e32 v7, v16, v7, vcc
	v_cmp_ne_u32_e32 vcc, 0, v3
	v_add_u32_e32 v19, s11, v19
	s_nop 0
	v_cndmask_b32_e64 v3, 0, 1, vcc
	v_lshl_or_b32 v3, v3, 9, v16
	v_cmp_eq_u32_e32 vcc, s9, v8
	s_nop 1
	v_cndmask_b32_e32 v3, v7, v3, vcc
	v_lshrrev_b32_e32 v7, 16, v21
	v_and_or_b32 v3, v7, s8, v3
	v_lshl_or_b32 v1, v3, 16, v1
	s_waitcnt lgkmcnt(0)
	v_lshrrev_b32_e32 v3, 16, v10
	v_mul_f16_sdwa v5, v66, v3 dst_sel:DWORD dst_unused:UNUSED_PAD src0_sel:WORD_1 src1_sel:DWORD
	v_fma_f16 v5, v66, v10, v5
	v_cvt_f32_f16_e32 v5, v5
	global_store_dword v[18:19], v1, off
	v_cvt_f64_f32_e32 v[20:21], v5
	v_mul_f64 v[20:21], v[20:21], s[2:3]
	v_and_or_b32 v1, v21, s6, v20
	v_cmp_ne_u32_e32 vcc, 0, v1
	v_lshrrev_b32_e32 v5, 8, v21
	v_bfe_u32 v7, v21, 20, 11
	v_cndmask_b32_e64 v1, 0, 1, vcc
	v_and_or_b32 v1, v5, s7, v1
	v_sub_u32_e32 v8, 0x3f1, v7
	v_or_b32_e32 v5, 0x1000, v1
	v_med3_i32 v8, v8, 0, 13
	v_lshrrev_b32_e32 v12, v8, v5
	v_lshlrev_b32_e32 v8, v8, v12
	v_cmp_ne_u32_e32 vcc, v8, v5
	v_add_u32_e32 v7, 0xfffffc10, v7
	v_lshl_or_b32 v8, v7, 12, v1
	v_cndmask_b32_e64 v5, 0, 1, vcc
	v_or_b32_e32 v5, v12, v5
	v_cmp_gt_i32_e32 vcc, 1, v7
	s_nop 1
	v_cndmask_b32_e32 v5, v8, v5, vcc
	v_and_b32_e32 v8, 7, v5
	v_cmp_lt_i32_e32 vcc, 5, v8
	v_cmp_eq_u32_e64 s[0:1], 3, v8
	v_lshrrev_b32_e32 v5, 2, v5
	s_or_b64 vcc, s[0:1], vcc
	v_mul_f16_sdwa v8, v66, v10 dst_sel:DWORD dst_unused:UNUSED_PAD src0_sel:WORD_1 src1_sel:DWORD
	v_addc_co_u32_e32 v5, vcc, 0, v5, vcc
	v_fma_f16 v3, v66, v3, -v8
	v_cmp_gt_i32_e32 vcc, 31, v7
	v_cvt_f32_f16_e32 v3, v3
	s_nop 0
	v_cndmask_b32_e32 v5, v16, v5, vcc
	v_cmp_ne_u32_e32 vcc, 0, v1
	s_nop 1
	v_cndmask_b32_e64 v1, 0, 1, vcc
	v_lshl_or_b32 v1, v1, 9, v16
	v_cmp_eq_u32_e32 vcc, s9, v7
	s_nop 1
	v_cndmask_b32_e32 v1, v5, v1, vcc
	v_and_b32_sdwa v5, v21, s8 dst_sel:DWORD dst_unused:UNUSED_PAD src0_sel:WORD_1 src1_sel:DWORD
	v_cvt_f64_f32_e32 v[20:21], v3
	v_mul_f64 v[20:21], v[20:21], s[2:3]
	v_and_or_b32 v3, v21, s6, v20
	v_cmp_ne_u32_e32 vcc, 0, v3
	v_lshrrev_b32_e32 v7, 8, v21
	v_bfe_u32 v8, v21, 20, 11
	v_cndmask_b32_e64 v3, 0, 1, vcc
	v_and_or_b32 v3, v7, s7, v3
	v_sub_u32_e32 v10, 0x3f1, v8
	v_or_b32_e32 v7, 0x1000, v3
	v_med3_i32 v10, v10, 0, 13
	v_lshrrev_b32_e32 v12, v10, v7
	v_lshlrev_b32_e32 v10, v10, v12
	v_cmp_ne_u32_e32 vcc, v10, v7
	v_add_u32_e32 v8, 0xfffffc10, v8
	v_lshl_or_b32 v10, v8, 12, v3
	v_cndmask_b32_e64 v7, 0, 1, vcc
	v_or_b32_e32 v7, v12, v7
	v_cmp_gt_i32_e32 vcc, 1, v8
	v_bitop3_b32 v1, v5, s10, v1 bitop3:0xc8
	s_nop 0
	v_cndmask_b32_e32 v7, v10, v7, vcc
	v_and_b32_e32 v10, 7, v7
	v_cmp_lt_i32_e32 vcc, 5, v10
	v_cmp_eq_u32_e64 s[0:1], 3, v10
	v_lshrrev_b32_e32 v7, 2, v7
	s_or_b64 vcc, s[0:1], vcc
	v_addc_co_u32_e32 v7, vcc, 0, v7, vcc
	v_cmp_gt_i32_e32 vcc, 31, v8
	v_mad_u64_u32 v[18:19], s[0:1], s4, v25, v[18:19]
	s_nop 0
	v_cndmask_b32_e32 v7, v16, v7, vcc
	v_cmp_ne_u32_e32 vcc, 0, v3
	v_add_u32_e32 v19, s11, v19
	s_nop 0
	v_cndmask_b32_e64 v3, 0, 1, vcc
	v_lshl_or_b32 v3, v3, 9, v16
	v_cmp_eq_u32_e32 vcc, s9, v8
	s_nop 1
	v_cndmask_b32_e32 v3, v7, v3, vcc
	v_lshrrev_b32_e32 v7, 16, v21
	v_and_or_b32 v3, v7, s8, v3
	v_lshl_or_b32 v1, v3, 16, v1
	v_lshrrev_b32_e32 v3, 16, v13
	v_mul_f16_sdwa v5, v64, v3 dst_sel:DWORD dst_unused:UNUSED_PAD src0_sel:WORD_1 src1_sel:DWORD
	v_fma_f16 v5, v64, v13, v5
	v_cvt_f32_f16_e32 v5, v5
	global_store_dword v[18:19], v1, off
	v_cvt_f64_f32_e32 v[20:21], v5
	v_mul_f64 v[20:21], v[20:21], s[2:3]
	v_and_or_b32 v1, v21, s6, v20
	v_cmp_ne_u32_e32 vcc, 0, v1
	v_lshrrev_b32_e32 v5, 8, v21
	v_bfe_u32 v7, v21, 20, 11
	v_cndmask_b32_e64 v1, 0, 1, vcc
	v_and_or_b32 v1, v5, s7, v1
	v_sub_u32_e32 v8, 0x3f1, v7
	v_or_b32_e32 v5, 0x1000, v1
	v_med3_i32 v8, v8, 0, 13
	v_lshrrev_b32_e32 v10, v8, v5
	v_lshlrev_b32_e32 v8, v8, v10
	v_cmp_ne_u32_e32 vcc, v8, v5
	v_add_u32_e32 v7, 0xfffffc10, v7
	v_lshl_or_b32 v8, v7, 12, v1
	v_cndmask_b32_e64 v5, 0, 1, vcc
	v_or_b32_e32 v5, v10, v5
	v_cmp_gt_i32_e32 vcc, 1, v7
	s_nop 1
	v_cndmask_b32_e32 v5, v8, v5, vcc
	v_and_b32_e32 v8, 7, v5
	v_cmp_lt_i32_e32 vcc, 5, v8
	v_cmp_eq_u32_e64 s[0:1], 3, v8
	v_mul_f16_sdwa v8, v64, v13 dst_sel:DWORD dst_unused:UNUSED_PAD src0_sel:WORD_1 src1_sel:DWORD
	v_lshrrev_b32_e32 v5, 2, v5
	s_or_b64 vcc, s[0:1], vcc
	v_fma_f16 v3, v64, v3, -v8
	v_addc_co_u32_e32 v5, vcc, 0, v5, vcc
	v_cvt_f32_f16_e32 v3, v3
	v_cmp_gt_i32_e32 vcc, 31, v7
	v_cvt_f64_f32_e32 v[12:13], v3
	s_nop 0
	v_cndmask_b32_e32 v5, v16, v5, vcc
	v_cmp_ne_u32_e32 vcc, 0, v1
	s_nop 1
	v_cndmask_b32_e64 v1, 0, 1, vcc
	v_lshl_or_b32 v1, v1, 9, v16
	v_cmp_eq_u32_e32 vcc, s9, v7
	s_nop 1
	v_cndmask_b32_e32 v1, v5, v1, vcc
	v_and_b32_sdwa v5, v21, s8 dst_sel:DWORD dst_unused:UNUSED_PAD src0_sel:WORD_1 src1_sel:DWORD
	v_mul_f64 v[20:21], v[12:13], s[2:3]
	v_and_or_b32 v3, v21, s6, v20
	v_cmp_ne_u32_e32 vcc, 0, v3
	v_lshrrev_b32_e32 v7, 8, v21
	v_bfe_u32 v8, v21, 20, 11
	v_cndmask_b32_e64 v3, 0, 1, vcc
	v_and_or_b32 v3, v7, s7, v3
	v_sub_u32_e32 v10, 0x3f1, v8
	v_or_b32_e32 v7, 0x1000, v3
	v_med3_i32 v10, v10, 0, 13
	v_lshrrev_b32_e32 v12, v10, v7
	v_lshlrev_b32_e32 v10, v10, v12
	v_cmp_ne_u32_e32 vcc, v10, v7
	v_add_u32_e32 v8, 0xfffffc10, v8
	v_lshl_or_b32 v10, v8, 12, v3
	v_cndmask_b32_e64 v7, 0, 1, vcc
	v_or_b32_e32 v7, v12, v7
	v_cmp_gt_i32_e32 vcc, 1, v8
	ds_read2st64_b32 v[12:13], v57 offset0:128 offset1:136
	v_bitop3_b32 v1, v5, s10, v1 bitop3:0xc8
	v_cndmask_b32_e32 v7, v10, v7, vcc
	v_and_b32_e32 v10, 7, v7
	v_cmp_lt_i32_e32 vcc, 5, v10
	v_cmp_eq_u32_e64 s[0:1], 3, v10
	v_lshrrev_b32_e32 v7, 2, v7
	s_or_b64 vcc, s[0:1], vcc
	v_addc_co_u32_e32 v7, vcc, 0, v7, vcc
	v_cmp_gt_i32_e32 vcc, 31, v8
	v_mad_u64_u32 v[18:19], s[0:1], s4, v25, v[18:19]
	s_nop 0
	v_cndmask_b32_e32 v7, v16, v7, vcc
	v_cmp_ne_u32_e32 vcc, 0, v3
	v_add_u32_e32 v19, s11, v19
	s_nop 0
	v_cndmask_b32_e64 v3, 0, 1, vcc
	v_lshl_or_b32 v3, v3, 9, v16
	v_cmp_eq_u32_e32 vcc, s9, v8
	s_nop 1
	v_cndmask_b32_e32 v3, v7, v3, vcc
	v_lshrrev_b32_e32 v7, 16, v21
	v_and_or_b32 v3, v7, s8, v3
	v_lshl_or_b32 v1, v3, 16, v1
	s_waitcnt lgkmcnt(0)
	v_lshrrev_b32_e32 v3, 16, v12
	v_mul_f16_sdwa v5, v63, v3 dst_sel:DWORD dst_unused:UNUSED_PAD src0_sel:WORD_1 src1_sel:DWORD
	v_fma_f16 v5, v63, v12, v5
	v_cvt_f32_f16_e32 v5, v5
	global_store_dword v[18:19], v1, off
	v_cvt_f64_f32_e32 v[20:21], v5
	v_mul_f64 v[20:21], v[20:21], s[2:3]
	v_and_or_b32 v1, v21, s6, v20
	v_cmp_ne_u32_e32 vcc, 0, v1
	v_lshrrev_b32_e32 v5, 8, v21
	v_bfe_u32 v7, v21, 20, 11
	v_cndmask_b32_e64 v1, 0, 1, vcc
	v_and_or_b32 v1, v5, s7, v1
	v_sub_u32_e32 v8, 0x3f1, v7
	v_or_b32_e32 v5, 0x1000, v1
	v_med3_i32 v8, v8, 0, 13
	v_lshrrev_b32_e32 v10, v8, v5
	v_lshlrev_b32_e32 v8, v8, v10
	v_cmp_ne_u32_e32 vcc, v8, v5
	v_add_u32_e32 v7, 0xfffffc10, v7
	v_lshl_or_b32 v8, v7, 12, v1
	v_cndmask_b32_e64 v5, 0, 1, vcc
	v_or_b32_e32 v5, v10, v5
	v_cmp_gt_i32_e32 vcc, 1, v7
	s_nop 1
	v_cndmask_b32_e32 v5, v8, v5, vcc
	v_and_b32_e32 v8, 7, v5
	v_cmp_lt_i32_e32 vcc, 5, v8
	v_cmp_eq_u32_e64 s[0:1], 3, v8
	v_lshrrev_b32_e32 v5, 2, v5
	s_or_b64 vcc, s[0:1], vcc
	v_mul_f16_sdwa v8, v63, v12 dst_sel:DWORD dst_unused:UNUSED_PAD src0_sel:WORD_1 src1_sel:DWORD
	v_addc_co_u32_e32 v5, vcc, 0, v5, vcc
	v_fma_f16 v3, v63, v3, -v8
	v_cmp_gt_i32_e32 vcc, 31, v7
	v_cvt_f32_f16_e32 v3, v3
	s_nop 0
	v_cndmask_b32_e32 v5, v16, v5, vcc
	v_cmp_ne_u32_e32 vcc, 0, v1
	s_nop 1
	v_cndmask_b32_e64 v1, 0, 1, vcc
	v_lshl_or_b32 v1, v1, 9, v16
	v_cmp_eq_u32_e32 vcc, s9, v7
	s_nop 1
	v_cndmask_b32_e32 v1, v5, v1, vcc
	v_and_b32_sdwa v5, v21, s8 dst_sel:DWORD dst_unused:UNUSED_PAD src0_sel:WORD_1 src1_sel:DWORD
	v_cvt_f64_f32_e32 v[20:21], v3
	v_mul_f64 v[20:21], v[20:21], s[2:3]
	v_and_or_b32 v3, v21, s6, v20
	v_cmp_ne_u32_e32 vcc, 0, v3
	v_lshrrev_b32_e32 v7, 8, v21
	v_bfe_u32 v8, v21, 20, 11
	v_cndmask_b32_e64 v3, 0, 1, vcc
	v_and_or_b32 v3, v7, s7, v3
	v_sub_u32_e32 v10, 0x3f1, v8
	v_or_b32_e32 v7, 0x1000, v3
	v_med3_i32 v10, v10, 0, 13
	v_lshrrev_b32_e32 v12, v10, v7
	v_lshlrev_b32_e32 v10, v10, v12
	v_cmp_ne_u32_e32 vcc, v10, v7
	v_add_u32_e32 v8, 0xfffffc10, v8
	v_lshl_or_b32 v10, v8, 12, v3
	v_cndmask_b32_e64 v7, 0, 1, vcc
	v_or_b32_e32 v7, v12, v7
	v_cmp_gt_i32_e32 vcc, 1, v8
	v_bitop3_b32 v1, v5, s10, v1 bitop3:0xc8
	s_nop 0
	v_cndmask_b32_e32 v7, v10, v7, vcc
	v_and_b32_e32 v10, 7, v7
	v_cmp_lt_i32_e32 vcc, 5, v10
	v_cmp_eq_u32_e64 s[0:1], 3, v10
	v_lshrrev_b32_e32 v7, 2, v7
	s_or_b64 vcc, s[0:1], vcc
	v_addc_co_u32_e32 v7, vcc, 0, v7, vcc
	v_cmp_gt_i32_e32 vcc, 31, v8
	v_mad_u64_u32 v[18:19], s[0:1], s4, v25, v[18:19]
	s_nop 0
	v_cndmask_b32_e32 v7, v16, v7, vcc
	v_cmp_ne_u32_e32 vcc, 0, v3
	v_add_u32_e32 v19, s11, v19
	s_nop 0
	v_cndmask_b32_e64 v3, 0, 1, vcc
	v_lshl_or_b32 v3, v3, 9, v16
	v_cmp_eq_u32_e32 vcc, s9, v8
	s_nop 1
	v_cndmask_b32_e32 v3, v7, v3, vcc
	v_lshrrev_b32_e32 v7, 16, v21
	v_and_or_b32 v3, v7, s8, v3
	v_lshl_or_b32 v1, v3, 16, v1
	v_lshrrev_b32_e32 v3, 16, v15
	v_mul_f16_sdwa v5, v62, v3 dst_sel:DWORD dst_unused:UNUSED_PAD src0_sel:WORD_1 src1_sel:DWORD
	v_fma_f16 v5, v62, v15, v5
	v_cvt_f32_f16_e32 v5, v5
	global_store_dword v[18:19], v1, off
	v_cvt_f64_f32_e32 v[20:21], v5
	v_mul_f64 v[20:21], v[20:21], s[2:3]
	v_and_or_b32 v1, v21, s6, v20
	v_cmp_ne_u32_e32 vcc, 0, v1
	v_lshrrev_b32_e32 v5, 8, v21
	v_bfe_u32 v7, v21, 20, 11
	v_cndmask_b32_e64 v1, 0, 1, vcc
	v_and_or_b32 v1, v5, s7, v1
	v_sub_u32_e32 v8, 0x3f1, v7
	v_or_b32_e32 v5, 0x1000, v1
	v_med3_i32 v8, v8, 0, 13
	v_lshrrev_b32_e32 v10, v8, v5
	v_lshlrev_b32_e32 v8, v8, v10
	v_cmp_ne_u32_e32 vcc, v8, v5
	v_add_u32_e32 v7, 0xfffffc10, v7
	v_lshl_or_b32 v8, v7, 12, v1
	v_cndmask_b32_e64 v5, 0, 1, vcc
	v_or_b32_e32 v5, v10, v5
	v_cmp_gt_i32_e32 vcc, 1, v7
	s_nop 1
	v_cndmask_b32_e32 v5, v8, v5, vcc
	v_and_b32_e32 v8, 7, v5
	v_cmp_lt_i32_e32 vcc, 5, v8
	v_cmp_eq_u32_e64 s[0:1], 3, v8
	v_mul_f16_sdwa v8, v62, v15 dst_sel:DWORD dst_unused:UNUSED_PAD src0_sel:WORD_1 src1_sel:DWORD
	v_lshrrev_b32_e32 v5, 2, v5
	s_or_b64 vcc, s[0:1], vcc
	v_fma_f16 v3, v62, v3, -v8
	v_addc_co_u32_e32 v5, vcc, 0, v5, vcc
	v_cvt_f32_f16_e32 v3, v3
	v_cmp_gt_i32_e32 vcc, 31, v7
	v_cvt_f64_f32_e32 v[14:15], v3
	s_nop 0
	v_cndmask_b32_e32 v5, v16, v5, vcc
	v_cmp_ne_u32_e32 vcc, 0, v1
	s_nop 1
	v_cndmask_b32_e64 v1, 0, 1, vcc
	v_lshl_or_b32 v1, v1, 9, v16
	v_cmp_eq_u32_e32 vcc, s9, v7
	s_nop 1
	v_cndmask_b32_e32 v1, v5, v1, vcc
	v_and_b32_sdwa v5, v21, s8 dst_sel:DWORD dst_unused:UNUSED_PAD src0_sel:WORD_1 src1_sel:DWORD
	v_mul_f64 v[20:21], v[14:15], s[2:3]
	v_and_or_b32 v3, v21, s6, v20
	v_cmp_ne_u32_e32 vcc, 0, v3
	v_lshrrev_b32_e32 v7, 8, v21
	v_bfe_u32 v8, v21, 20, 11
	v_cndmask_b32_e64 v3, 0, 1, vcc
	v_and_or_b32 v3, v7, s7, v3
	v_sub_u32_e32 v10, 0x3f1, v8
	v_or_b32_e32 v7, 0x1000, v3
	v_med3_i32 v10, v10, 0, 13
	v_lshrrev_b32_e32 v12, v10, v7
	v_lshlrev_b32_e32 v10, v10, v12
	v_cmp_ne_u32_e32 vcc, v10, v7
	v_add_u32_e32 v8, 0xfffffc10, v8
	v_lshl_or_b32 v10, v8, 12, v3
	v_cndmask_b32_e64 v7, 0, 1, vcc
	v_or_b32_e32 v7, v12, v7
	v_cmp_gt_i32_e32 vcc, 1, v8
	ds_read2st64_b32 v[14:15], v57 offset0:176 offset1:184
	v_bitop3_b32 v1, v5, s10, v1 bitop3:0xc8
	v_cndmask_b32_e32 v7, v10, v7, vcc
	v_and_b32_e32 v10, 7, v7
	v_cmp_lt_i32_e32 vcc, 5, v10
	v_cmp_eq_u32_e64 s[0:1], 3, v10
	v_lshrrev_b32_e32 v7, 2, v7
	s_or_b64 vcc, s[0:1], vcc
	v_addc_co_u32_e32 v7, vcc, 0, v7, vcc
	v_cmp_gt_i32_e32 vcc, 31, v8
	v_mad_u64_u32 v[18:19], s[0:1], s4, v25, v[18:19]
	s_nop 0
	v_cndmask_b32_e32 v7, v16, v7, vcc
	v_cmp_ne_u32_e32 vcc, 0, v3
	v_add_u32_e32 v19, s11, v19
	s_nop 0
	v_cndmask_b32_e64 v3, 0, 1, vcc
	v_lshl_or_b32 v3, v3, 9, v16
	v_cmp_eq_u32_e32 vcc, s9, v8
	s_nop 1
	v_cndmask_b32_e32 v3, v7, v3, vcc
	v_lshrrev_b32_e32 v7, 16, v21
	v_and_or_b32 v3, v7, s8, v3
	v_lshl_or_b32 v1, v3, 16, v1
	s_waitcnt lgkmcnt(0)
	v_lshrrev_b32_e32 v3, 16, v14
	v_mul_f16_sdwa v5, v61, v3 dst_sel:DWORD dst_unused:UNUSED_PAD src0_sel:WORD_1 src1_sel:DWORD
	v_fma_f16 v5, v61, v14, v5
	v_cvt_f32_f16_e32 v5, v5
	global_store_dword v[18:19], v1, off
	v_cvt_f64_f32_e32 v[20:21], v5
	v_mul_f64 v[20:21], v[20:21], s[2:3]
	v_and_or_b32 v1, v21, s6, v20
	v_cmp_ne_u32_e32 vcc, 0, v1
	v_lshrrev_b32_e32 v5, 8, v21
	v_bfe_u32 v7, v21, 20, 11
	v_cndmask_b32_e64 v1, 0, 1, vcc
	v_and_or_b32 v1, v5, s7, v1
	v_sub_u32_e32 v8, 0x3f1, v7
	v_or_b32_e32 v5, 0x1000, v1
	v_med3_i32 v8, v8, 0, 13
	v_lshrrev_b32_e32 v10, v8, v5
	v_lshlrev_b32_e32 v8, v8, v10
	v_cmp_ne_u32_e32 vcc, v8, v5
	v_add_u32_e32 v7, 0xfffffc10, v7
	v_lshl_or_b32 v8, v7, 12, v1
	v_cndmask_b32_e64 v5, 0, 1, vcc
	v_or_b32_e32 v5, v10, v5
	v_cmp_gt_i32_e32 vcc, 1, v7
	s_nop 1
	v_cndmask_b32_e32 v5, v8, v5, vcc
	v_and_b32_e32 v8, 7, v5
	v_cmp_lt_i32_e32 vcc, 5, v8
	v_cmp_eq_u32_e64 s[0:1], 3, v8
	v_lshrrev_b32_e32 v5, 2, v5
	s_or_b64 vcc, s[0:1], vcc
	v_mul_f16_sdwa v8, v61, v14 dst_sel:DWORD dst_unused:UNUSED_PAD src0_sel:WORD_1 src1_sel:DWORD
	v_addc_co_u32_e32 v5, vcc, 0, v5, vcc
	v_fma_f16 v3, v61, v3, -v8
	v_cmp_gt_i32_e32 vcc, 31, v7
	v_cvt_f32_f16_e32 v3, v3
	s_nop 0
	v_cndmask_b32_e32 v5, v16, v5, vcc
	v_cmp_ne_u32_e32 vcc, 0, v1
	s_nop 1
	v_cndmask_b32_e64 v1, 0, 1, vcc
	v_lshl_or_b32 v1, v1, 9, v16
	v_cmp_eq_u32_e32 vcc, s9, v7
	s_nop 1
	v_cndmask_b32_e32 v1, v5, v1, vcc
	v_and_b32_sdwa v5, v21, s8 dst_sel:DWORD dst_unused:UNUSED_PAD src0_sel:WORD_1 src1_sel:DWORD
	v_cvt_f64_f32_e32 v[20:21], v3
	v_mul_f64 v[20:21], v[20:21], s[2:3]
	v_and_or_b32 v3, v21, s6, v20
	v_cmp_ne_u32_e32 vcc, 0, v3
	v_lshrrev_b32_e32 v7, 8, v21
	v_bfe_u32 v8, v21, 20, 11
	v_cndmask_b32_e64 v3, 0, 1, vcc
	v_and_or_b32 v3, v7, s7, v3
	v_sub_u32_e32 v10, 0x3f1, v8
	v_or_b32_e32 v7, 0x1000, v3
	v_med3_i32 v10, v10, 0, 13
	v_lshrrev_b32_e32 v12, v10, v7
	v_lshlrev_b32_e32 v10, v10, v12
	v_cmp_ne_u32_e32 vcc, v10, v7
	v_add_u32_e32 v8, 0xfffffc10, v8
	v_lshl_or_b32 v10, v8, 12, v3
	v_cndmask_b32_e64 v7, 0, 1, vcc
	v_or_b32_e32 v7, v12, v7
	v_cmp_gt_i32_e32 vcc, 1, v8
	v_bitop3_b32 v1, v5, s10, v1 bitop3:0xc8
	s_nop 0
	v_cndmask_b32_e32 v7, v10, v7, vcc
	v_and_b32_e32 v10, 7, v7
	v_cmp_lt_i32_e32 vcc, 5, v10
	v_cmp_eq_u32_e64 s[0:1], 3, v10
	v_lshrrev_b32_e32 v7, 2, v7
	s_or_b64 vcc, s[0:1], vcc
	v_addc_co_u32_e32 v7, vcc, 0, v7, vcc
	v_cmp_gt_i32_e32 vcc, 31, v8
	v_mad_u64_u32 v[18:19], s[0:1], s4, v25, v[18:19]
	s_nop 0
	v_cndmask_b32_e32 v7, v16, v7, vcc
	v_cmp_ne_u32_e32 vcc, 0, v3
	v_add_u32_e32 v19, s11, v19
	s_nop 0
	v_cndmask_b32_e64 v3, 0, 1, vcc
	v_lshl_or_b32 v3, v3, 9, v16
	v_cmp_eq_u32_e32 vcc, s9, v8
	s_nop 1
	v_cndmask_b32_e32 v3, v7, v3, vcc
	v_lshrrev_b32_e32 v7, 16, v21
	v_and_or_b32 v3, v7, s8, v3
	v_lshl_or_b32 v1, v3, 16, v1
	v_lshrrev_b32_e32 v3, 16, v0
	v_mul_f16_sdwa v5, v60, v3 dst_sel:DWORD dst_unused:UNUSED_PAD src0_sel:WORD_1 src1_sel:DWORD
	v_fma_f16 v5, v60, v0, v5
	v_cvt_f32_f16_e32 v5, v5
	global_store_dword v[18:19], v1, off
	v_mul_f16_sdwa v0, v60, v0 dst_sel:DWORD dst_unused:UNUSED_PAD src0_sel:WORD_1 src1_sel:DWORD
	v_fma_f16 v0, v60, v3, -v0
	v_cvt_f64_f32_e32 v[20:21], v5
	v_mul_f64 v[20:21], v[20:21], s[2:3]
	v_and_or_b32 v1, v21, s6, v20
	v_cmp_ne_u32_e32 vcc, 0, v1
	v_lshrrev_b32_e32 v5, 8, v21
	v_bfe_u32 v7, v21, 20, 11
	v_cndmask_b32_e64 v1, 0, 1, vcc
	v_and_or_b32 v1, v5, s7, v1
	v_sub_u32_e32 v8, 0x3f1, v7
	v_or_b32_e32 v5, 0x1000, v1
	v_med3_i32 v8, v8, 0, 13
	v_lshrrev_b32_e32 v10, v8, v5
	v_lshlrev_b32_e32 v8, v8, v10
	v_cmp_ne_u32_e32 vcc, v8, v5
	v_add_u32_e32 v7, 0xfffffc10, v7
	v_lshl_or_b32 v8, v7, 12, v1
	v_cndmask_b32_e64 v5, 0, 1, vcc
	v_or_b32_e32 v5, v10, v5
	v_cmp_gt_i32_e32 vcc, 1, v7
	v_cvt_f32_f16_e32 v0, v0
	s_nop 0
	v_cndmask_b32_e32 v5, v8, v5, vcc
	v_and_b32_e32 v8, 7, v5
	v_cmp_lt_i32_e32 vcc, 5, v8
	v_cmp_eq_u32_e64 s[0:1], 3, v8
	v_lshrrev_b32_e32 v5, 2, v5
	s_or_b64 vcc, s[0:1], vcc
	v_addc_co_u32_e32 v5, vcc, 0, v5, vcc
	v_cmp_gt_i32_e32 vcc, 31, v7
	s_nop 1
	v_cndmask_b32_e32 v5, v16, v5, vcc
	v_cmp_ne_u32_e32 vcc, 0, v1
	s_nop 1
	v_cndmask_b32_e64 v1, 0, 1, vcc
	v_lshl_or_b32 v1, v1, 9, v16
	v_cmp_eq_u32_e32 vcc, s9, v7
	s_nop 1
	v_cndmask_b32_e32 v3, v5, v1, vcc
	v_cvt_f64_f32_e32 v[0:1], v0
	v_mul_f64 v[0:1], v[0:1], s[2:3]
	v_and_or_b32 v0, v1, s6, v0
	v_cmp_ne_u32_e32 vcc, 0, v0
	v_lshrrev_b32_e32 v7, 8, v1
	v_bfe_u32 v8, v1, 20, 11
	v_cndmask_b32_e64 v0, 0, 1, vcc
	v_and_or_b32 v0, v7, s7, v0
	v_sub_u32_e32 v10, 0x3f1, v8
	v_or_b32_e32 v7, 0x1000, v0
	v_med3_i32 v10, v10, 0, 13
	v_lshrrev_b32_e32 v12, v10, v7
	v_lshlrev_b32_e32 v10, v10, v12
	v_cmp_ne_u32_e32 vcc, v10, v7
	v_add_u32_e32 v8, 0xfffffc10, v8
	v_lshl_or_b32 v10, v8, 12, v0
	v_cndmask_b32_e64 v7, 0, 1, vcc
	v_or_b32_e32 v7, v12, v7
	v_cmp_gt_i32_e32 vcc, 1, v8
	v_and_b32_sdwa v5, v21, s8 dst_sel:DWORD dst_unused:UNUSED_PAD src0_sel:WORD_1 src1_sel:DWORD
	v_lshrrev_b32_e32 v1, 16, v1
	v_cndmask_b32_e32 v7, v10, v7, vcc
	v_and_b32_e32 v10, 7, v7
	v_cmp_lt_i32_e32 vcc, 5, v10
	v_cmp_eq_u32_e64 s[0:1], 3, v10
	v_lshrrev_b32_e32 v7, 2, v7
	s_or_b64 vcc, s[0:1], vcc
	v_addc_co_u32_e32 v7, vcc, 0, v7, vcc
	v_cmp_gt_i32_e32 vcc, 31, v8
	s_nop 1
	v_cndmask_b32_e32 v7, v16, v7, vcc
	v_cmp_ne_u32_e32 vcc, 0, v0
	s_nop 1
	v_cndmask_b32_e64 v0, 0, 1, vcc
	v_lshl_or_b32 v0, v0, 9, v16
	v_cmp_eq_u32_e32 vcc, s9, v8
	s_nop 1
	v_cndmask_b32_e32 v0, v7, v0, vcc
	v_and_or_b32 v0, v1, s8, v0
	v_bitop3_b32 v1, v5, s10, v3 bitop3:0xc8
	v_lshrrev_b32_e32 v5, 16, v9
	v_lshl_or_b32 v3, v0, 16, v1
	v_mul_f16_sdwa v0, v59, v5 dst_sel:DWORD dst_unused:UNUSED_PAD src0_sel:WORD_1 src1_sel:DWORD
	v_fma_f16 v0, v59, v9, v0
	v_cvt_f32_f16_e32 v7, v0
	v_mad_u64_u32 v[0:1], s[0:1], s4, v43, v[18:19]
	v_add_u32_e32 v1, s5, v1
	v_cvt_f64_f32_e32 v[18:19], v7
	v_mul_f64 v[18:19], v[18:19], s[2:3]
	global_store_dword v[0:1], v3, off
	v_and_or_b32 v3, v19, s6, v18
	v_cmp_ne_u32_e32 vcc, 0, v3
	v_lshrrev_b32_e32 v7, 8, v19
	v_bfe_u32 v8, v19, 20, 11
	v_cndmask_b32_e64 v3, 0, 1, vcc
	v_and_or_b32 v3, v7, s7, v3
	v_sub_u32_e32 v10, 0x3f1, v8
	v_or_b32_e32 v7, 0x1000, v3
	v_med3_i32 v10, v10, 0, 13
	v_lshrrev_b32_e32 v12, v10, v7
	v_lshlrev_b32_e32 v10, v10, v12
	v_cmp_ne_u32_e32 vcc, v10, v7
	v_add_u32_e32 v8, 0xfffffc10, v8
	v_lshl_or_b32 v10, v8, 12, v3
	v_cndmask_b32_e64 v7, 0, 1, vcc
	v_or_b32_e32 v7, v12, v7
	v_cmp_gt_i32_e32 vcc, 1, v8
	v_mul_f16_sdwa v9, v59, v9 dst_sel:DWORD dst_unused:UNUSED_PAD src0_sel:WORD_1 src1_sel:DWORD
	v_fma_f16 v5, v59, v5, -v9
	v_cndmask_b32_e32 v7, v10, v7, vcc
	v_and_b32_e32 v10, 7, v7
	v_cmp_lt_i32_e32 vcc, 5, v10
	v_cmp_eq_u32_e64 s[0:1], 3, v10
	v_lshrrev_b32_e32 v7, 2, v7
	s_or_b64 vcc, s[0:1], vcc
	v_cvt_f32_f16_e32 v5, v5
	v_addc_co_u32_e32 v7, vcc, 0, v7, vcc
	v_cmp_gt_i32_e32 vcc, 31, v8
	s_nop 1
	v_cndmask_b32_e32 v7, v16, v7, vcc
	v_cmp_ne_u32_e32 vcc, 0, v3
	s_nop 1
	v_cndmask_b32_e64 v3, 0, 1, vcc
	v_cmp_eq_u32_e32 vcc, s9, v8
	v_cvt_f64_f32_e32 v[8:9], v5
	v_mul_f64 v[8:9], v[8:9], s[2:3]
	v_lshl_or_b32 v3, v3, 9, v16
	v_and_or_b32 v5, v9, s6, v8
	v_cndmask_b32_e32 v3, v7, v3, vcc
	v_cmp_ne_u32_e32 vcc, 0, v5
	v_lshrrev_b32_e32 v8, 8, v9
	v_bfe_u32 v10, v9, 20, 11
	v_cndmask_b32_e64 v5, 0, 1, vcc
	v_and_or_b32 v5, v8, s7, v5
	v_sub_u32_e32 v12, 0x3f1, v10
	v_or_b32_e32 v8, 0x1000, v5
	v_med3_i32 v12, v12, 0, 13
	v_lshrrev_b32_e32 v14, v12, v8
	v_lshlrev_b32_e32 v12, v12, v14
	v_cmp_ne_u32_e32 vcc, v12, v8
	v_add_u32_e32 v10, 0xfffffc10, v10
	v_lshl_or_b32 v12, v10, 12, v5
	v_cndmask_b32_e64 v8, 0, 1, vcc
	v_or_b32_e32 v8, v14, v8
	v_cmp_gt_i32_e32 vcc, 1, v10
	v_and_b32_sdwa v7, v19, s8 dst_sel:DWORD dst_unused:UNUSED_PAD src0_sel:WORD_1 src1_sel:DWORD
	v_bitop3_b32 v3, v7, s10, v3 bitop3:0xc8
	v_cndmask_b32_e32 v8, v12, v8, vcc
	v_and_b32_e32 v12, 7, v8
	v_cmp_lt_i32_e32 vcc, 5, v12
	v_cmp_eq_u32_e64 s[0:1], 3, v12
	v_lshrrev_b32_e32 v8, 2, v8
	s_or_b64 vcc, s[0:1], vcc
	v_addc_co_u32_e32 v8, vcc, 0, v8, vcc
	v_cmp_gt_i32_e32 vcc, 31, v10
	v_mad_u64_u32 v[0:1], s[0:1], s4, v25, v[0:1]
	s_nop 0
	v_cndmask_b32_e32 v8, v16, v8, vcc
	v_cmp_ne_u32_e32 vcc, 0, v5
	v_add_u32_e32 v1, s11, v1
	s_nop 0
	v_cndmask_b32_e64 v5, 0, 1, vcc
	v_lshl_or_b32 v5, v5, 9, v16
	v_cmp_eq_u32_e32 vcc, s9, v10
	s_nop 1
	v_cndmask_b32_e32 v5, v8, v5, vcc
	v_lshrrev_b32_e32 v8, 16, v9
	v_and_or_b32 v5, v8, s8, v5
	v_lshl_or_b32 v3, v5, 16, v3
	v_lshrrev_b32_e32 v5, 16, v2
	v_mul_f16_sdwa v7, v58, v5 dst_sel:DWORD dst_unused:UNUSED_PAD src0_sel:WORD_1 src1_sel:DWORD
	v_fma_f16 v7, v58, v2, v7
	v_cvt_f32_f16_e32 v7, v7
	global_store_dword v[0:1], v3, off
	v_mul_f16_sdwa v2, v58, v2 dst_sel:DWORD dst_unused:UNUSED_PAD src0_sel:WORD_1 src1_sel:DWORD
	v_fma_f16 v2, v58, v5, -v2
	v_cvt_f64_f32_e32 v[8:9], v7
	v_mul_f64 v[8:9], v[8:9], s[2:3]
	v_and_or_b32 v3, v9, s6, v8
	v_cmp_ne_u32_e32 vcc, 0, v3
	v_lshrrev_b32_e32 v7, 8, v9
	v_bfe_u32 v8, v9, 20, 11
	v_cndmask_b32_e64 v3, 0, 1, vcc
	v_and_or_b32 v3, v7, s7, v3
	v_sub_u32_e32 v10, 0x3f1, v8
	v_or_b32_e32 v7, 0x1000, v3
	v_med3_i32 v10, v10, 0, 13
	v_lshrrev_b32_e32 v12, v10, v7
	v_lshlrev_b32_e32 v10, v10, v12
	v_cmp_ne_u32_e32 vcc, v10, v7
	v_add_u32_e32 v8, 0xfffffc10, v8
	v_lshl_or_b32 v10, v8, 12, v3
	v_cndmask_b32_e64 v7, 0, 1, vcc
	v_or_b32_e32 v7, v12, v7
	v_cmp_gt_i32_e32 vcc, 1, v8
	v_cvt_f32_f16_e32 v2, v2
	s_nop 0
	v_cndmask_b32_e32 v7, v10, v7, vcc
	v_and_b32_e32 v10, 7, v7
	v_cmp_lt_i32_e32 vcc, 5, v10
	v_cmp_eq_u32_e64 s[0:1], 3, v10
	v_lshrrev_b32_e32 v7, 2, v7
	s_or_b64 vcc, s[0:1], vcc
	v_addc_co_u32_e32 v7, vcc, 0, v7, vcc
	v_cmp_gt_i32_e32 vcc, 31, v8
	s_nop 1
	v_cndmask_b32_e32 v7, v16, v7, vcc
	v_cmp_ne_u32_e32 vcc, 0, v3
	s_nop 1
	v_cndmask_b32_e64 v3, 0, 1, vcc
	v_lshl_or_b32 v3, v3, 9, v16
	v_cmp_eq_u32_e32 vcc, s9, v8
	s_nop 1
	v_cndmask_b32_e32 v5, v7, v3, vcc
	v_cvt_f64_f32_e32 v[2:3], v2
	v_mul_f64 v[2:3], v[2:3], s[2:3]
	v_and_or_b32 v2, v3, s6, v2
	v_cmp_ne_u32_e32 vcc, 0, v2
	v_and_b32_sdwa v7, v9, s8 dst_sel:DWORD dst_unused:UNUSED_PAD src0_sel:WORD_1 src1_sel:DWORD
	v_lshrrev_b32_e32 v8, 8, v3
	v_cndmask_b32_e64 v2, 0, 1, vcc
	v_bfe_u32 v9, v3, 20, 11
	v_and_or_b32 v2, v8, s7, v2
	v_sub_u32_e32 v10, 0x3f1, v9
	v_or_b32_e32 v8, 0x1000, v2
	v_med3_i32 v10, v10, 0, 13
	v_lshrrev_b32_e32 v12, v10, v8
	v_lshlrev_b32_e32 v10, v10, v12
	v_cmp_ne_u32_e32 vcc, v10, v8
	v_add_u32_e32 v9, 0xfffffc10, v9
	v_lshl_or_b32 v10, v9, 12, v2
	v_cndmask_b32_e64 v8, 0, 1, vcc
	v_or_b32_e32 v8, v12, v8
	v_cmp_gt_i32_e32 vcc, 1, v9
	v_lshrrev_b32_e32 v3, 16, v3
	s_nop 0
	v_cndmask_b32_e32 v8, v10, v8, vcc
	v_and_b32_e32 v10, 7, v8
	v_cmp_lt_i32_e32 vcc, 5, v10
	v_cmp_eq_u32_e64 s[0:1], 3, v10
	v_lshrrev_b32_e32 v8, 2, v8
	s_or_b64 vcc, s[0:1], vcc
	v_addc_co_u32_e32 v8, vcc, 0, v8, vcc
	v_cmp_gt_i32_e32 vcc, 31, v9
	v_mad_u64_u32 v[0:1], s[0:1], s4, v25, v[0:1]
	s_nop 0
	v_cndmask_b32_e32 v8, v16, v8, vcc
	v_cmp_ne_u32_e32 vcc, 0, v2
	v_add_u32_e32 v1, s11, v1
	s_nop 0
	v_cndmask_b32_e64 v2, 0, 1, vcc
	v_lshl_or_b32 v2, v2, 9, v16
	v_cmp_eq_u32_e32 vcc, s9, v9
	s_nop 1
	v_cndmask_b32_e32 v2, v8, v2, vcc
	v_and_or_b32 v2, v3, s8, v2
	v_bitop3_b32 v3, v7, s10, v5 bitop3:0xc8
	v_lshrrev_b32_e32 v5, 16, v11
	v_lshl_or_b32 v2, v2, 16, v3
	v_mul_f16_sdwa v3, v56, v5 dst_sel:DWORD dst_unused:UNUSED_PAD src0_sel:WORD_1 src1_sel:DWORD
	v_fma_f16 v3, v56, v11, v3
	v_cvt_f32_f16_e32 v3, v3
	global_store_dword v[0:1], v2, off
	v_cvt_f64_f32_e32 v[2:3], v3
	v_mul_f64 v[2:3], v[2:3], s[2:3]
	v_and_or_b32 v2, v3, s6, v2
	v_cmp_ne_u32_e32 vcc, 0, v2
	v_lshrrev_b32_e32 v7, 8, v3
	v_bfe_u32 v8, v3, 20, 11
	v_cndmask_b32_e64 v2, 0, 1, vcc
	v_and_or_b32 v2, v7, s7, v2
	v_sub_u32_e32 v9, 0x3f1, v8
	v_or_b32_e32 v7, 0x1000, v2
	v_med3_i32 v9, v9, 0, 13
	v_lshrrev_b32_e32 v10, v9, v7
	v_lshlrev_b32_e32 v9, v9, v10
	v_cmp_ne_u32_e32 vcc, v9, v7
	v_add_u32_e32 v8, 0xfffffc10, v8
	v_lshl_or_b32 v9, v8, 12, v2
	v_cndmask_b32_e64 v7, 0, 1, vcc
	v_or_b32_e32 v7, v10, v7
	v_cmp_gt_i32_e32 vcc, 1, v8
	s_nop 1
	v_cndmask_b32_e32 v7, v9, v7, vcc
	v_and_b32_e32 v9, 7, v7
	v_cmp_lt_i32_e32 vcc, 5, v9
	v_cmp_eq_u32_e64 s[0:1], 3, v9
	v_lshrrev_b32_e32 v7, 2, v7
	s_or_b64 vcc, s[0:1], vcc
	v_mul_f16_sdwa v9, v56, v11 dst_sel:DWORD dst_unused:UNUSED_PAD src0_sel:WORD_1 src1_sel:DWORD
	v_addc_co_u32_e32 v7, vcc, 0, v7, vcc
	v_fma_f16 v5, v56, v5, -v9
	v_cmp_gt_i32_e32 vcc, 31, v8
	v_cvt_f32_f16_e32 v5, v5
	s_nop 0
	v_cndmask_b32_e32 v7, v16, v7, vcc
	v_cmp_ne_u32_e32 vcc, 0, v2
	s_nop 1
	v_cndmask_b32_e64 v2, 0, 1, vcc
	v_lshl_or_b32 v2, v2, 9, v16
	v_cmp_eq_u32_e32 vcc, s9, v8
	v_and_b32_sdwa v8, v3, s8 dst_sel:DWORD dst_unused:UNUSED_PAD src0_sel:WORD_1 src1_sel:DWORD
	s_nop 0
	v_cndmask_b32_e32 v7, v7, v2, vcc
	v_cvt_f64_f32_e32 v[2:3], v5
	v_mul_f64 v[2:3], v[2:3], s[2:3]
	v_and_or_b32 v2, v3, s6, v2
	v_cmp_ne_u32_e32 vcc, 0, v2
	v_lshrrev_b32_e32 v5, 8, v3
	v_bfe_u32 v9, v3, 20, 11
	v_cndmask_b32_e64 v2, 0, 1, vcc
	v_and_or_b32 v2, v5, s7, v2
	v_sub_u32_e32 v10, 0x3f1, v9
	v_or_b32_e32 v5, 0x1000, v2
	v_med3_i32 v10, v10, 0, 13
	v_lshrrev_b32_e32 v11, v10, v5
	v_lshlrev_b32_e32 v10, v10, v11
	v_cmp_ne_u32_e32 vcc, v10, v5
	v_add_u32_e32 v9, 0xfffffc10, v9
	v_lshl_or_b32 v10, v9, 12, v2
	v_cndmask_b32_e64 v5, 0, 1, vcc
	v_or_b32_e32 v5, v11, v5
	v_cmp_gt_i32_e32 vcc, 1, v9
	v_lshrrev_b32_e32 v3, 16, v3
	s_nop 0
	v_cndmask_b32_e32 v5, v10, v5, vcc
	v_and_b32_e32 v10, 7, v5
	v_cmp_lt_i32_e32 vcc, 5, v10
	v_cmp_eq_u32_e64 s[0:1], 3, v10
	v_lshrrev_b32_e32 v5, 2, v5
	s_or_b64 vcc, s[0:1], vcc
	v_addc_co_u32_e32 v5, vcc, 0, v5, vcc
	v_cmp_gt_i32_e32 vcc, 31, v9
	v_mad_u64_u32 v[0:1], s[0:1], s4, v25, v[0:1]
	s_nop 0
	v_cndmask_b32_e32 v5, v16, v5, vcc
	v_cmp_ne_u32_e32 vcc, 0, v2
	v_add_u32_e32 v1, s11, v1
	s_nop 0
	v_cndmask_b32_e64 v2, 0, 1, vcc
	v_lshl_or_b32 v2, v2, 9, v16
	v_cmp_eq_u32_e32 vcc, s9, v9
	s_nop 1
	v_cndmask_b32_e32 v2, v5, v2, vcc
	v_and_or_b32 v2, v3, s8, v2
	v_bitop3_b32 v3, v8, s10, v7 bitop3:0xc8
	v_lshrrev_b32_e32 v5, 16, v4
	v_lshl_or_b32 v2, v2, 16, v3
	v_mul_f16_sdwa v3, v41, v5 dst_sel:DWORD dst_unused:UNUSED_PAD src0_sel:WORD_1 src1_sel:DWORD
	v_fma_f16 v3, v41, v4, v3
	v_cvt_f32_f16_e32 v3, v3
	global_store_dword v[0:1], v2, off
	v_mul_f16_sdwa v4, v41, v4 dst_sel:DWORD dst_unused:UNUSED_PAD src0_sel:WORD_1 src1_sel:DWORD
	v_fma_f16 v4, v41, v5, -v4
	v_cvt_f64_f32_e32 v[2:3], v3
	v_mul_f64 v[2:3], v[2:3], s[2:3]
	v_and_or_b32 v2, v3, s6, v2
	v_cmp_ne_u32_e32 vcc, 0, v2
	v_lshrrev_b32_e32 v7, 8, v3
	v_bfe_u32 v8, v3, 20, 11
	v_cndmask_b32_e64 v2, 0, 1, vcc
	v_and_or_b32 v2, v7, s7, v2
	v_sub_u32_e32 v9, 0x3f1, v8
	v_or_b32_e32 v7, 0x1000, v2
	v_med3_i32 v9, v9, 0, 13
	v_lshrrev_b32_e32 v10, v9, v7
	v_lshlrev_b32_e32 v9, v9, v10
	v_cmp_ne_u32_e32 vcc, v9, v7
	v_add_u32_e32 v8, 0xfffffc10, v8
	v_lshl_or_b32 v9, v8, 12, v2
	v_cndmask_b32_e64 v7, 0, 1, vcc
	v_or_b32_e32 v7, v10, v7
	v_cmp_gt_i32_e32 vcc, 1, v8
	v_cvt_f32_f16_e32 v4, v4
	s_nop 0
	v_cndmask_b32_e32 v7, v9, v7, vcc
	v_and_b32_e32 v9, 7, v7
	v_cmp_lt_i32_e32 vcc, 5, v9
	v_cmp_eq_u32_e64 s[0:1], 3, v9
	v_lshrrev_b32_e32 v7, 2, v7
	s_or_b64 vcc, s[0:1], vcc
	v_addc_co_u32_e32 v7, vcc, 0, v7, vcc
	v_cmp_gt_i32_e32 vcc, 31, v8
	s_nop 1
	v_cndmask_b32_e32 v7, v16, v7, vcc
	v_cmp_ne_u32_e32 vcc, 0, v2
	s_nop 1
	v_cndmask_b32_e64 v2, 0, 1, vcc
	v_lshl_or_b32 v2, v2, 9, v16
	v_cmp_eq_u32_e32 vcc, s9, v8
	s_nop 1
	v_cndmask_b32_e32 v5, v7, v2, vcc
	v_and_b32_sdwa v7, v3, s8 dst_sel:DWORD dst_unused:UNUSED_PAD src0_sel:WORD_1 src1_sel:DWORD
	v_cvt_f64_f32_e32 v[2:3], v4
	v_mul_f64 v[2:3], v[2:3], s[2:3]
	v_and_or_b32 v2, v3, s6, v2
	v_cmp_ne_u32_e32 vcc, 0, v2
	v_lshrrev_b32_e32 v4, 8, v3
	v_bfe_u32 v8, v3, 20, 11
	v_cndmask_b32_e64 v2, 0, 1, vcc
	v_and_or_b32 v2, v4, s7, v2
	v_sub_u32_e32 v9, 0x3f1, v8
	v_or_b32_e32 v4, 0x1000, v2
	v_med3_i32 v9, v9, 0, 13
	v_lshrrev_b32_e32 v10, v9, v4
	v_lshlrev_b32_e32 v9, v9, v10
	v_cmp_ne_u32_e32 vcc, v9, v4
	v_add_u32_e32 v8, 0xfffffc10, v8
	v_lshl_or_b32 v9, v8, 12, v2
	v_cndmask_b32_e64 v4, 0, 1, vcc
	v_or_b32_e32 v4, v10, v4
	v_cmp_gt_i32_e32 vcc, 1, v8
	v_lshrrev_b32_e32 v3, 16, v3
	s_nop 0
	v_cndmask_b32_e32 v4, v9, v4, vcc
	v_and_b32_e32 v9, 7, v4
	v_cmp_lt_i32_e32 vcc, 5, v9
	v_cmp_eq_u32_e64 s[0:1], 3, v9
	v_lshrrev_b32_e32 v4, 2, v4
	s_or_b64 vcc, s[0:1], vcc
	v_addc_co_u32_e32 v4, vcc, 0, v4, vcc
	v_cmp_gt_i32_e32 vcc, 31, v8
	v_mad_u64_u32 v[0:1], s[0:1], s4, v25, v[0:1]
	s_nop 0
	v_cndmask_b32_e32 v4, v16, v4, vcc
	v_cmp_ne_u32_e32 vcc, 0, v2
	v_add_u32_e32 v1, s11, v1
	s_nop 0
	v_cndmask_b32_e64 v2, 0, 1, vcc
	v_lshl_or_b32 v2, v2, 9, v16
	v_cmp_eq_u32_e32 vcc, s9, v8
	s_nop 1
	v_cndmask_b32_e32 v2, v4, v2, vcc
	v_and_or_b32 v2, v3, s8, v2
	v_bitop3_b32 v3, v7, s10, v5 bitop3:0xc8
	v_lshrrev_b32_e32 v4, 16, v13
	v_lshl_or_b32 v2, v2, 16, v3
	v_mul_f16_sdwa v3, v37, v4 dst_sel:DWORD dst_unused:UNUSED_PAD src0_sel:WORD_1 src1_sel:DWORD
	v_fma_f16 v3, v37, v13, v3
	v_cvt_f32_f16_e32 v3, v3
	global_store_dword v[0:1], v2, off
	v_cvt_f64_f32_e32 v[2:3], v3
	v_mul_f64 v[2:3], v[2:3], s[2:3]
	v_and_or_b32 v2, v3, s6, v2
	v_cmp_ne_u32_e32 vcc, 0, v2
	v_lshrrev_b32_e32 v5, 8, v3
	v_bfe_u32 v7, v3, 20, 11
	v_cndmask_b32_e64 v2, 0, 1, vcc
	v_and_or_b32 v2, v5, s7, v2
	v_sub_u32_e32 v8, 0x3f1, v7
	v_or_b32_e32 v5, 0x1000, v2
	v_med3_i32 v8, v8, 0, 13
	v_lshrrev_b32_e32 v9, v8, v5
	v_lshlrev_b32_e32 v8, v8, v9
	v_cmp_ne_u32_e32 vcc, v8, v5
	v_add_u32_e32 v7, 0xfffffc10, v7
	v_lshl_or_b32 v8, v7, 12, v2
	v_cndmask_b32_e64 v5, 0, 1, vcc
	v_or_b32_e32 v5, v9, v5
	v_cmp_gt_i32_e32 vcc, 1, v7
	s_nop 1
	v_cndmask_b32_e32 v5, v8, v5, vcc
	v_and_b32_e32 v8, 7, v5
	v_cmp_lt_i32_e32 vcc, 5, v8
	v_cmp_eq_u32_e64 s[0:1], 3, v8
	v_lshrrev_b32_e32 v5, 2, v5
	s_or_b64 vcc, s[0:1], vcc
	v_mul_f16_sdwa v8, v37, v13 dst_sel:DWORD dst_unused:UNUSED_PAD src0_sel:WORD_1 src1_sel:DWORD
	v_addc_co_u32_e32 v5, vcc, 0, v5, vcc
	v_fma_f16 v4, v37, v4, -v8
	v_cmp_gt_i32_e32 vcc, 31, v7
	v_cvt_f32_f16_e32 v4, v4
	s_nop 0
	v_cndmask_b32_e32 v5, v16, v5, vcc
	v_cmp_ne_u32_e32 vcc, 0, v2
	s_nop 1
	v_cndmask_b32_e64 v2, 0, 1, vcc
	v_lshl_or_b32 v2, v2, 9, v16
	v_cmp_eq_u32_e32 vcc, s9, v7
	v_and_b32_sdwa v7, v3, s8 dst_sel:DWORD dst_unused:UNUSED_PAD src0_sel:WORD_1 src1_sel:DWORD
	s_nop 0
	v_cndmask_b32_e32 v5, v5, v2, vcc
	v_cvt_f64_f32_e32 v[2:3], v4
	v_mul_f64 v[2:3], v[2:3], s[2:3]
	v_and_or_b32 v2, v3, s6, v2
	v_cmp_ne_u32_e32 vcc, 0, v2
	v_lshrrev_b32_e32 v4, 8, v3
	v_bfe_u32 v8, v3, 20, 11
	v_cndmask_b32_e64 v2, 0, 1, vcc
	v_and_or_b32 v2, v4, s7, v2
	v_sub_u32_e32 v9, 0x3f1, v8
	v_or_b32_e32 v4, 0x1000, v2
	v_med3_i32 v9, v9, 0, 13
	v_lshrrev_b32_e32 v10, v9, v4
	v_lshlrev_b32_e32 v9, v9, v10
	v_cmp_ne_u32_e32 vcc, v9, v4
	v_add_u32_e32 v8, 0xfffffc10, v8
	v_lshl_or_b32 v9, v8, 12, v2
	v_cndmask_b32_e64 v4, 0, 1, vcc
	v_or_b32_e32 v4, v10, v4
	v_cmp_gt_i32_e32 vcc, 1, v8
	v_lshrrev_b32_e32 v3, 16, v3
	s_nop 0
	v_cndmask_b32_e32 v4, v9, v4, vcc
	v_and_b32_e32 v9, 7, v4
	v_cmp_lt_i32_e32 vcc, 5, v9
	v_cmp_eq_u32_e64 s[0:1], 3, v9
	v_lshrrev_b32_e32 v4, 2, v4
	s_or_b64 vcc, s[0:1], vcc
	v_addc_co_u32_e32 v4, vcc, 0, v4, vcc
	v_cmp_gt_i32_e32 vcc, 31, v8
	v_mad_u64_u32 v[0:1], s[0:1], s4, v25, v[0:1]
	s_nop 0
	v_cndmask_b32_e32 v4, v16, v4, vcc
	v_cmp_ne_u32_e32 vcc, 0, v2
	v_add_u32_e32 v1, s11, v1
	s_nop 0
	v_cndmask_b32_e64 v2, 0, 1, vcc
	v_lshl_or_b32 v2, v2, 9, v16
	v_cmp_eq_u32_e32 vcc, s9, v8
	s_nop 1
	v_cndmask_b32_e32 v2, v4, v2, vcc
	v_and_or_b32 v2, v3, s8, v2
	v_bitop3_b32 v3, v7, s10, v5 bitop3:0xc8
	v_lshrrev_b32_e32 v4, 16, v6
	v_lshl_or_b32 v2, v2, 16, v3
	v_mul_f16_sdwa v3, v33, v4 dst_sel:DWORD dst_unused:UNUSED_PAD src0_sel:WORD_1 src1_sel:DWORD
	v_fma_f16 v3, v33, v6, v3
	v_cvt_f32_f16_e32 v3, v3
	global_store_dword v[0:1], v2, off
	v_mul_f16_sdwa v6, v33, v6 dst_sel:DWORD dst_unused:UNUSED_PAD src0_sel:WORD_1 src1_sel:DWORD
	v_fma_f16 v4, v33, v4, -v6
	v_cvt_f64_f32_e32 v[2:3], v3
	v_mul_f64 v[2:3], v[2:3], s[2:3]
	v_and_or_b32 v2, v3, s6, v2
	v_cmp_ne_u32_e32 vcc, 0, v2
	v_lshrrev_b32_e32 v5, 8, v3
	v_bfe_u32 v7, v3, 20, 11
	v_cndmask_b32_e64 v2, 0, 1, vcc
	v_and_or_b32 v2, v5, s7, v2
	v_sub_u32_e32 v8, 0x3f1, v7
	v_or_b32_e32 v5, 0x1000, v2
	v_med3_i32 v8, v8, 0, 13
	v_lshrrev_b32_e32 v9, v8, v5
	v_lshlrev_b32_e32 v8, v8, v9
	v_cmp_ne_u32_e32 vcc, v8, v5
	v_add_u32_e32 v7, 0xfffffc10, v7
	v_lshl_or_b32 v8, v7, 12, v2
	v_cndmask_b32_e64 v5, 0, 1, vcc
	v_or_b32_e32 v5, v9, v5
	v_cmp_gt_i32_e32 vcc, 1, v7
	v_cvt_f32_f16_e32 v4, v4
	v_and_b32_sdwa v6, v3, s8 dst_sel:DWORD dst_unused:UNUSED_PAD src0_sel:WORD_1 src1_sel:DWORD
	v_cndmask_b32_e32 v5, v8, v5, vcc
	v_and_b32_e32 v8, 7, v5
	v_cmp_lt_i32_e32 vcc, 5, v8
	v_cmp_eq_u32_e64 s[0:1], 3, v8
	v_lshrrev_b32_e32 v5, 2, v5
	s_or_b64 vcc, s[0:1], vcc
	v_addc_co_u32_e32 v5, vcc, 0, v5, vcc
	v_cmp_gt_i32_e32 vcc, 31, v7
	s_nop 1
	v_cndmask_b32_e32 v5, v16, v5, vcc
	v_cmp_ne_u32_e32 vcc, 0, v2
	s_nop 1
	v_cndmask_b32_e64 v2, 0, 1, vcc
	v_lshl_or_b32 v2, v2, 9, v16
	v_cmp_eq_u32_e32 vcc, s9, v7
	s_nop 1
	v_cndmask_b32_e32 v5, v5, v2, vcc
	v_cvt_f64_f32_e32 v[2:3], v4
	v_mul_f64 v[2:3], v[2:3], s[2:3]
	v_and_or_b32 v2, v3, s6, v2
	v_cmp_ne_u32_e32 vcc, 0, v2
	v_lshrrev_b32_e32 v4, 8, v3
	v_bfe_u32 v7, v3, 20, 11
	v_cndmask_b32_e64 v2, 0, 1, vcc
	v_and_or_b32 v2, v4, s7, v2
	v_sub_u32_e32 v8, 0x3f1, v7
	v_or_b32_e32 v4, 0x1000, v2
	v_med3_i32 v8, v8, 0, 13
	v_lshrrev_b32_e32 v9, v8, v4
	v_lshlrev_b32_e32 v8, v8, v9
	v_cmp_ne_u32_e32 vcc, v8, v4
	v_add_u32_e32 v7, 0xfffffc10, v7
	v_lshl_or_b32 v8, v7, 12, v2
	v_cndmask_b32_e64 v4, 0, 1, vcc
	v_or_b32_e32 v4, v9, v4
	v_cmp_gt_i32_e32 vcc, 1, v7
	v_lshrrev_b32_e32 v3, 16, v3
	s_nop 0
	v_cndmask_b32_e32 v4, v8, v4, vcc
	v_and_b32_e32 v8, 7, v4
	v_cmp_lt_i32_e32 vcc, 5, v8
	v_cmp_eq_u32_e64 s[0:1], 3, v8
	v_lshrrev_b32_e32 v4, 2, v4
	s_or_b64 vcc, s[0:1], vcc
	v_addc_co_u32_e32 v4, vcc, 0, v4, vcc
	v_cmp_gt_i32_e32 vcc, 31, v7
	v_mad_u64_u32 v[0:1], s[0:1], s4, v25, v[0:1]
	s_nop 0
	v_cndmask_b32_e32 v4, v16, v4, vcc
	v_cmp_ne_u32_e32 vcc, 0, v2
	v_add_u32_e32 v1, s11, v1
	s_nop 0
	v_cndmask_b32_e64 v2, 0, 1, vcc
	v_lshl_or_b32 v2, v2, 9, v16
	v_cmp_eq_u32_e32 vcc, s9, v7
	s_nop 1
	v_cndmask_b32_e32 v2, v4, v2, vcc
	v_and_or_b32 v2, v3, s8, v2
	v_bitop3_b32 v3, v6, s10, v5 bitop3:0xc8
	v_lshrrev_b32_e32 v4, 16, v15
	v_lshl_or_b32 v2, v2, 16, v3
	v_mul_f16_sdwa v3, v29, v4 dst_sel:DWORD dst_unused:UNUSED_PAD src0_sel:WORD_1 src1_sel:DWORD
	v_fma_f16 v3, v29, v15, v3
	v_cvt_f32_f16_e32 v3, v3
	global_store_dword v[0:1], v2, off
	v_cvt_f64_f32_e32 v[2:3], v3
	v_mul_f64 v[2:3], v[2:3], s[2:3]
	v_and_or_b32 v2, v3, s6, v2
	v_cmp_ne_u32_e32 vcc, 0, v2
	v_lshrrev_b32_e32 v5, 8, v3
	v_bfe_u32 v6, v3, 20, 11
	v_cndmask_b32_e64 v2, 0, 1, vcc
	v_and_or_b32 v2, v5, s7, v2
	v_sub_u32_e32 v7, 0x3f1, v6
	v_or_b32_e32 v5, 0x1000, v2
	v_med3_i32 v7, v7, 0, 13
	v_lshrrev_b32_e32 v8, v7, v5
	v_lshlrev_b32_e32 v7, v7, v8
	v_cmp_ne_u32_e32 vcc, v7, v5
	v_add_u32_e32 v6, 0xfffffc10, v6
	v_lshl_or_b32 v7, v6, 12, v2
	v_cndmask_b32_e64 v5, 0, 1, vcc
	v_or_b32_e32 v5, v8, v5
	v_cmp_gt_i32_e32 vcc, 1, v6
	s_nop 1
	v_cndmask_b32_e32 v5, v7, v5, vcc
	v_and_b32_e32 v7, 7, v5
	v_cmp_lt_i32_e32 vcc, 5, v7
	v_cmp_eq_u32_e64 s[0:1], 3, v7
	v_lshrrev_b32_e32 v5, 2, v5
	s_or_b64 vcc, s[0:1], vcc
	v_mul_f16_sdwa v7, v29, v15 dst_sel:DWORD dst_unused:UNUSED_PAD src0_sel:WORD_1 src1_sel:DWORD
	v_addc_co_u32_e32 v5, vcc, 0, v5, vcc
	v_fma_f16 v4, v29, v4, -v7
	v_cmp_gt_i32_e32 vcc, 31, v6
	v_cvt_f32_f16_e32 v4, v4
	s_nop 0
	v_cndmask_b32_e32 v5, v16, v5, vcc
	v_cmp_ne_u32_e32 vcc, 0, v2
	s_nop 1
	v_cndmask_b32_e64 v2, 0, 1, vcc
	v_lshl_or_b32 v2, v2, 9, v16
	v_cmp_eq_u32_e32 vcc, s9, v6
	v_and_b32_sdwa v6, v3, s8 dst_sel:DWORD dst_unused:UNUSED_PAD src0_sel:WORD_1 src1_sel:DWORD
	s_nop 0
	v_cndmask_b32_e32 v5, v5, v2, vcc
	v_cvt_f64_f32_e32 v[2:3], v4
	v_mul_f64 v[2:3], v[2:3], s[2:3]
	v_and_or_b32 v2, v3, s6, v2
	v_cmp_ne_u32_e32 vcc, 0, v2
	v_lshrrev_b32_e32 v4, 8, v3
	v_bfe_u32 v7, v3, 20, 11
	v_cndmask_b32_e64 v2, 0, 1, vcc
	v_and_or_b32 v2, v4, s7, v2
	v_sub_u32_e32 v8, 0x3f1, v7
	v_or_b32_e32 v4, 0x1000, v2
	v_med3_i32 v8, v8, 0, 13
	v_lshrrev_b32_e32 v9, v8, v4
	v_lshlrev_b32_e32 v8, v8, v9
	v_cmp_ne_u32_e32 vcc, v8, v4
	v_add_u32_e32 v7, 0xfffffc10, v7
	v_lshl_or_b32 v8, v7, 12, v2
	v_cndmask_b32_e64 v4, 0, 1, vcc
	v_or_b32_e32 v4, v9, v4
	v_cmp_gt_i32_e32 vcc, 1, v7
	v_lshrrev_b32_e32 v3, 16, v3
	s_nop 0
	v_cndmask_b32_e32 v4, v8, v4, vcc
	v_and_b32_e32 v8, 7, v4
	v_cmp_lt_i32_e32 vcc, 5, v8
	v_cmp_eq_u32_e64 s[0:1], 3, v8
	v_lshrrev_b32_e32 v4, 2, v4
	s_or_b64 vcc, s[0:1], vcc
	v_addc_co_u32_e32 v4, vcc, 0, v4, vcc
	v_cmp_gt_i32_e32 vcc, 31, v7
	v_mad_u64_u32 v[0:1], s[0:1], s4, v25, v[0:1]
	s_nop 0
	v_cndmask_b32_e32 v4, v16, v4, vcc
	v_cmp_ne_u32_e32 vcc, 0, v2
	v_add_u32_e32 v1, s11, v1
	s_nop 0
	v_cndmask_b32_e64 v2, 0, 1, vcc
	v_lshl_or_b32 v2, v2, 9, v16
	v_cmp_eq_u32_e32 vcc, s9, v7
	s_nop 1
	v_cndmask_b32_e32 v2, v4, v2, vcc
	v_and_or_b32 v2, v3, s8, v2
	v_bitop3_b32 v3, v6, s10, v5 bitop3:0xc8
	v_lshl_or_b32 v2, v2, 16, v3
	global_store_dword v[0:1], v2, off
.LBB0_2:
	s_endpgm
	.section	.rodata,"a",@progbits
	.p2align	6, 0x0
	.amdhsa_kernel bluestein_single_fwd_len12288_dim1_half_op_CI_CI
		.amdhsa_group_segment_fixed_size 49152
		.amdhsa_private_segment_fixed_size 0
		.amdhsa_kernarg_size 104
		.amdhsa_user_sgpr_count 2
		.amdhsa_user_sgpr_dispatch_ptr 0
		.amdhsa_user_sgpr_queue_ptr 0
		.amdhsa_user_sgpr_kernarg_segment_ptr 1
		.amdhsa_user_sgpr_dispatch_id 0
		.amdhsa_user_sgpr_kernarg_preload_length 0
		.amdhsa_user_sgpr_kernarg_preload_offset 0
		.amdhsa_user_sgpr_private_segment_size 0
		.amdhsa_uses_dynamic_stack 0
		.amdhsa_enable_private_segment 0
		.amdhsa_system_sgpr_workgroup_id_x 1
		.amdhsa_system_sgpr_workgroup_id_y 0
		.amdhsa_system_sgpr_workgroup_id_z 0
		.amdhsa_system_sgpr_workgroup_info 0
		.amdhsa_system_vgpr_workitem_id 0
		.amdhsa_next_free_vgpr 143
		.amdhsa_next_free_sgpr 20
		.amdhsa_accum_offset 144
		.amdhsa_reserve_vcc 1
		.amdhsa_float_round_mode_32 0
		.amdhsa_float_round_mode_16_64 0
		.amdhsa_float_denorm_mode_32 3
		.amdhsa_float_denorm_mode_16_64 3
		.amdhsa_dx10_clamp 1
		.amdhsa_ieee_mode 1
		.amdhsa_fp16_overflow 0
		.amdhsa_tg_split 0
		.amdhsa_exception_fp_ieee_invalid_op 0
		.amdhsa_exception_fp_denorm_src 0
		.amdhsa_exception_fp_ieee_div_zero 0
		.amdhsa_exception_fp_ieee_overflow 0
		.amdhsa_exception_fp_ieee_underflow 0
		.amdhsa_exception_fp_ieee_inexact 0
		.amdhsa_exception_int_div_zero 0
	.end_amdhsa_kernel
	.text
.Lfunc_end0:
	.size	bluestein_single_fwd_len12288_dim1_half_op_CI_CI, .Lfunc_end0-bluestein_single_fwd_len12288_dim1_half_op_CI_CI
                                        ; -- End function
	.section	.AMDGPU.csdata,"",@progbits
; Kernel info:
; codeLenInByte = 36420
; NumSgprs: 26
; NumVgprs: 143
; NumAgprs: 0
; TotalNumVgprs: 143
; ScratchSize: 0
; MemoryBound: 0
; FloatMode: 240
; IeeeMode: 1
; LDSByteSize: 49152 bytes/workgroup (compile time only)
; SGPRBlocks: 3
; VGPRBlocks: 17
; NumSGPRsForWavesPerEU: 26
; NumVGPRsForWavesPerEU: 143
; AccumOffset: 144
; Occupancy: 3
; WaveLimiterHint : 1
; COMPUTE_PGM_RSRC2:SCRATCH_EN: 0
; COMPUTE_PGM_RSRC2:USER_SGPR: 2
; COMPUTE_PGM_RSRC2:TRAP_HANDLER: 0
; COMPUTE_PGM_RSRC2:TGID_X_EN: 1
; COMPUTE_PGM_RSRC2:TGID_Y_EN: 0
; COMPUTE_PGM_RSRC2:TGID_Z_EN: 0
; COMPUTE_PGM_RSRC2:TIDIG_COMP_CNT: 0
; COMPUTE_PGM_RSRC3_GFX90A:ACCUM_OFFSET: 35
; COMPUTE_PGM_RSRC3_GFX90A:TG_SPLIT: 0
	.text
	.p2alignl 6, 3212836864
	.fill 256, 4, 3212836864
	.type	__hip_cuid_52d7a351aa44e432,@object ; @__hip_cuid_52d7a351aa44e432
	.section	.bss,"aw",@nobits
	.globl	__hip_cuid_52d7a351aa44e432
__hip_cuid_52d7a351aa44e432:
	.byte	0                               ; 0x0
	.size	__hip_cuid_52d7a351aa44e432, 1

	.ident	"AMD clang version 19.0.0git (https://github.com/RadeonOpenCompute/llvm-project roc-6.4.0 25133 c7fe45cf4b819c5991fe208aaa96edf142730f1d)"
	.section	".note.GNU-stack","",@progbits
	.addrsig
	.addrsig_sym __hip_cuid_52d7a351aa44e432
	.amdgpu_metadata
---
amdhsa.kernels:
  - .agpr_count:     0
    .args:
      - .actual_access:  read_only
        .address_space:  global
        .offset:         0
        .size:           8
        .value_kind:     global_buffer
      - .actual_access:  read_only
        .address_space:  global
        .offset:         8
        .size:           8
        .value_kind:     global_buffer
      - .actual_access:  read_only
        .address_space:  global
        .offset:         16
        .size:           8
        .value_kind:     global_buffer
      - .actual_access:  read_only
        .address_space:  global
        .offset:         24
        .size:           8
        .value_kind:     global_buffer
      - .actual_access:  read_only
        .address_space:  global
        .offset:         32
        .size:           8
        .value_kind:     global_buffer
      - .offset:         40
        .size:           8
        .value_kind:     by_value
      - .address_space:  global
        .offset:         48
        .size:           8
        .value_kind:     global_buffer
      - .address_space:  global
        .offset:         56
        .size:           8
        .value_kind:     global_buffer
      - .address_space:  global
        .offset:         64
        .size:           8
        .value_kind:     global_buffer
      - .address_space:  global
        .offset:         72
        .size:           8
        .value_kind:     global_buffer
      - .offset:         80
        .size:           4
        .value_kind:     by_value
      - .address_space:  global
        .offset:         88
        .size:           8
        .value_kind:     global_buffer
      - .address_space:  global
        .offset:         96
        .size:           8
        .value_kind:     global_buffer
    .group_segment_fixed_size: 49152
    .kernarg_segment_align: 8
    .kernarg_segment_size: 104
    .language:       OpenCL C
    .language_version:
      - 2
      - 0
    .max_flat_workgroup_size: 512
    .name:           bluestein_single_fwd_len12288_dim1_half_op_CI_CI
    .private_segment_fixed_size: 0
    .sgpr_count:     26
    .sgpr_spill_count: 0
    .symbol:         bluestein_single_fwd_len12288_dim1_half_op_CI_CI.kd
    .uniform_work_group_size: 1
    .uses_dynamic_stack: false
    .vgpr_count:     143
    .vgpr_spill_count: 0
    .wavefront_size: 64
amdhsa.target:   amdgcn-amd-amdhsa--gfx950
amdhsa.version:
  - 1
  - 2
...

	.end_amdgpu_metadata
